;; amdgpu-corpus repo=ROCm/rocFFT kind=compiled arch=gfx1201 opt=O3
	.text
	.amdgcn_target "amdgcn-amd-amdhsa--gfx1201"
	.amdhsa_code_object_version 6
	.protected	bluestein_single_fwd_len1694_dim1_dp_op_CI_CI ; -- Begin function bluestein_single_fwd_len1694_dim1_dp_op_CI_CI
	.globl	bluestein_single_fwd_len1694_dim1_dp_op_CI_CI
	.p2align	8
	.type	bluestein_single_fwd_len1694_dim1_dp_op_CI_CI,@function
bluestein_single_fwd_len1694_dim1_dp_op_CI_CI: ; @bluestein_single_fwd_len1694_dim1_dp_op_CI_CI
; %bb.0:
	s_load_b128 s[16:19], s[0:1], 0x28
	v_mul_u32_u24_e32 v1, 0x1aa, v0
	s_mov_b32 s2, exec_lo
	v_mov_b32_e32 v4, 0
	s_delay_alu instid0(VALU_DEP_2) | instskip(NEXT) | instid1(VALU_DEP_1)
	v_lshrrev_b32_e32 v1, 16, v1
	v_add_nc_u32_e32 v3, ttmp9, v1
	s_wait_kmcnt 0x0
	s_delay_alu instid0(VALU_DEP_1)
	v_cmpx_gt_u64_e64 s[16:17], v[3:4]
	s_cbranch_execz .LBB0_18
; %bb.1:
	s_clause 0x1
	s_load_b128 s[4:7], s[0:1], 0x18
	s_load_b128 s[8:11], s[0:1], 0x0
	v_mul_lo_u16 v1, 0x9a, v1
	v_mov_b32_e32 v4, v3
	s_mov_b32 s24, 0xf8bb580b
	s_mov_b32 s25, 0xbfe14ced
	;; [unrolled: 1-line block ×3, first 2 shown]
	v_sub_nc_u16 v60, v0, v1
	scratch_store_b64 off, v[4:5], off offset:32 ; 8-byte Folded Spill
	s_mov_b32 s20, 0x8eee2c13
	s_mov_b32 s22, 0x43842ef
	;; [unrolled: 1-line block ×3, first 2 shown]
	v_and_b32_e32 v213, 0xffff, v60
	s_mov_b32 s26, 0xbb3a28a1
	s_mov_b32 s27, 0xbfe82f19
	;; [unrolled: 1-line block ×7, first 2 shown]
	s_wait_kmcnt 0x0
	s_load_b128 s[12:15], s[4:5], 0x0
	s_mov_b32 s35, 0x3fd207e7
	s_mov_b32 s34, s28
	;; [unrolled: 1-line block ×5, first 2 shown]
	s_wait_kmcnt 0x0
	v_mad_co_u64_u32 v[8:9], null, s12, v213, 0
	v_mad_co_u64_u32 v[0:1], null, s14, v3, 0
	s_mul_u64 s[2:3], s[12:13], 0x9a0
	s_delay_alu instid0(VALU_DEP_2) | instskip(NEXT) | instid1(VALU_DEP_1)
	v_mov_b32_e32 v2, v9
	v_mad_co_u64_u32 v[3:4], null, s15, v3, v[1:2]
	s_mov_b32 s14, 0x640f44db
	s_mov_b32 s15, 0xbfc2375f
	s_delay_alu instid0(VALU_DEP_1) | instskip(SKIP_3) | instid1(VALU_DEP_1)
	v_mad_co_u64_u32 v[4:5], null, s13, v213, v[2:3]
	v_dual_mov_b32 v1, v3 :: v_dual_lshlrev_b32 v214, 4, v213
	s_mov_b32 s12, 0xd9c712b6
	s_mov_b32 s13, 0x3fda9628
	v_lshlrev_b64_e32 v[10:11], 4, v[0:1]
	s_delay_alu instid0(VALU_DEP_3)
	v_mov_b32_e32 v9, v4
	s_clause 0x1
	global_load_b128 v[2:5], v214, s[8:9]
	global_load_b128 v[12:15], v214, s[8:9] offset:2464
	v_add_co_u32 v0, vcc_lo, s18, v10
	v_lshlrev_b64_e32 v[16:17], 4, v[8:9]
	v_add_co_ci_u32_e32 v1, vcc_lo, s19, v11, vcc_lo
	s_clause 0x5
	global_load_b128 v[6:9], v214, s[8:9] offset:4928
	global_load_b128 v[18:21], v214, s[8:9] offset:7392
	;; [unrolled: 1-line block ×6, first 2 shown]
	v_add_co_u32 v32, vcc_lo, v0, v16
	s_wait_alu 0xfffd
	v_add_co_ci_u32_e32 v33, vcc_lo, v1, v17, vcc_lo
	s_mov_b32 s18, 0x9bcd5057
	s_delay_alu instid0(VALU_DEP_2) | instskip(SKIP_1) | instid1(VALU_DEP_2)
	v_add_co_u32 v34, vcc_lo, v32, s2
	s_wait_alu 0xfffd
	v_add_co_ci_u32_e32 v35, vcc_lo, s3, v33, vcc_lo
	s_clause 0x1
	global_load_b128 v[44:47], v[32:33], off
	global_load_b128 v[48:51], v[34:35], off
	v_add_co_u32 v36, vcc_lo, v34, s2
	s_wait_alu 0xfffd
	v_add_co_ci_u32_e32 v37, vcc_lo, s3, v35, vcc_lo
	s_mov_b32 s19, 0xbfeeb42a
	s_delay_alu instid0(VALU_DEP_2) | instskip(SKIP_1) | instid1(VALU_DEP_2)
	v_add_co_u32 v38, vcc_lo, v36, s2
	s_wait_alu 0xfffd
	v_add_co_ci_u32_e32 v39, vcc_lo, s3, v37, vcc_lo
	s_clause 0x1
	global_load_b128 v[52:55], v[36:37], off
	global_load_b128 v[56:59], v[38:39], off
	v_add_co_u32 v32, vcc_lo, v38, s2
	s_wait_alu 0xfffd
	v_add_co_ci_u32_e32 v33, vcc_lo, s3, v39, vcc_lo
	v_mul_lo_u16 v0, v60, 11
	s_delay_alu instid0(VALU_DEP_3) | instskip(SKIP_1) | instid1(VALU_DEP_3)
	v_add_co_u32 v34, vcc_lo, v32, s2
	s_wait_alu 0xfffd
	v_add_co_ci_u32_e32 v35, vcc_lo, s3, v33, vcc_lo
	global_load_b128 v[61:64], v[32:33], off
	v_add_co_u32 v32, vcc_lo, v34, s2
	s_wait_alu 0xfffd
	v_add_co_ci_u32_e32 v33, vcc_lo, s3, v35, vcc_lo
	global_load_b128 v[65:68], v[34:35], off
	;; [unrolled: 4-line block ×5, first 2 shown]
	v_add_co_u32 v85, vcc_lo, v40, s2
	s_wait_alu 0xfffd
	v_add_co_ci_u32_e32 v86, vcc_lo, s3, v41, vcc_lo
	s_clause 0x1
	global_load_b128 v[34:37], v214, s[8:9] offset:19712
	global_load_b128 v[30:33], v214, s[8:9] offset:22176
	global_load_b128 v[81:84], v[40:41], off
	global_load_b128 v[38:41], v214, s[8:9] offset:24640
	global_load_b128 v[85:88], v[85:86], off
	s_load_b128 s[4:7], s[6:7], 0x0
	s_mov_b32 s2, 0x8764f0ba
	s_mov_b32 s3, 0x3feaeb8c
	v_and_b32_e32 v0, 0xffff, v0
	v_cmp_gt_u16_e32 vcc_lo, 0x4d, v60
	s_wait_loadcnt 0x15
	scratch_store_b128 off, v[2:5], off offset:40 ; 16-byte Folded Spill
	s_wait_loadcnt 0x14
	scratch_store_b128 off, v[12:15], off offset:56 ; 16-byte Folded Spill
	;; [unrolled: 2-line block ×8, first 2 shown]
	s_wait_loadcnt 0xd
	v_mul_f64_e32 v[89:90], v[46:47], v[4:5]
	v_mul_f64_e32 v[91:92], v[44:45], v[4:5]
	s_wait_loadcnt 0xc
	v_mul_f64_e32 v[93:94], v[50:51], v[14:15]
	v_mul_f64_e32 v[95:96], v[48:49], v[14:15]
	s_wait_loadcnt 0xb
	v_mul_f64_e32 v[97:98], v[54:55], v[8:9]
	v_mul_f64_e32 v[99:100], v[52:53], v[8:9]
	s_wait_loadcnt 0xa
	v_mul_f64_e32 v[101:102], v[58:59], v[20:21]
	v_mul_f64_e32 v[103:104], v[56:57], v[20:21]
	s_wait_loadcnt 0x9
	v_mul_f64_e32 v[105:106], v[63:64], v[24:25]
	v_mul_f64_e32 v[107:108], v[61:62], v[24:25]
	s_wait_loadcnt 0x8
	v_mul_f64_e32 v[109:110], v[67:68], v[28:29]
	v_mul_f64_e32 v[111:112], v[65:66], v[28:29]
	s_wait_loadcnt 0x7
	v_mul_f64_e32 v[113:114], v[71:72], v[135:136]
	v_mul_f64_e32 v[115:116], v[69:70], v[135:136]
	s_wait_loadcnt 0x6
	v_mul_f64_e32 v[117:118], v[75:76], v[139:140]
	v_mul_f64_e32 v[119:120], v[73:74], v[139:140]
	v_fma_f64 v[44:45], v[44:45], v[2:3], v[89:90]
	v_fma_f64 v[46:47], v[46:47], v[2:3], -v[91:92]
	v_fma_f64 v[48:49], v[48:49], v[12:13], v[93:94]
	v_fma_f64 v[50:51], v[50:51], v[12:13], -v[95:96]
	s_wait_loadcnt 0x4
	v_mul_f64_e32 v[121:122], v[79:80], v[36:37]
	v_mul_f64_e32 v[123:124], v[77:78], v[36:37]
	s_wait_loadcnt 0x2
	v_mul_f64_e32 v[125:126], v[83:84], v[32:33]
	v_mul_f64_e32 v[127:128], v[81:82], v[32:33]
	;; [unrolled: 3-line block ×3, first 2 shown]
	v_fma_f64 v[52:53], v[52:53], v[6:7], v[97:98]
	v_fma_f64 v[54:55], v[54:55], v[6:7], -v[99:100]
	v_fma_f64 v[56:57], v[56:57], v[18:19], v[101:102]
	v_fma_f64 v[58:59], v[58:59], v[18:19], -v[103:104]
	s_clause 0x2
	scratch_store_b128 off, v[34:37], off offset:184
	scratch_store_b128 off, v[30:33], off offset:168
	;; [unrolled: 1-line block ×3, first 2 shown]
	v_fma_f64 v[61:62], v[61:62], v[22:23], v[105:106]
	v_fma_f64 v[63:64], v[63:64], v[22:23], -v[107:108]
	v_fma_f64 v[65:66], v[65:66], v[26:27], v[109:110]
	v_fma_f64 v[67:68], v[67:68], v[26:27], -v[111:112]
	;; [unrolled: 2-line block ×7, first 2 shown]
	ds_store_b128 v214, v[44:47]
	ds_store_b128 v214, v[48:51] offset:2464
	ds_store_b128 v214, v[52:55] offset:4928
	;; [unrolled: 1-line block ×10, first 2 shown]
	global_wb scope:SCOPE_SE
	s_wait_storecnt_dscnt 0x0
	s_wait_kmcnt 0x0
	s_barrier_signal -1
	s_barrier_wait -1
	global_inv scope:SCOPE_SE
	ds_load_b128 v[48:51], v214
	ds_load_b128 v[61:64], v214 offset:2464
	ds_load_b128 v[44:47], v214 offset:24640
	;; [unrolled: 1-line block ×10, first 2 shown]
	global_wb scope:SCOPE_SE
	s_wait_dscnt 0x0
	s_barrier_signal -1
	s_barrier_wait -1
	global_inv scope:SCOPE_SE
	v_add_f64_e32 v[89:90], v[48:49], v[61:62]
	v_add_f64_e32 v[91:92], v[50:51], v[63:64]
	v_add_f64_e64 v[93:94], v[63:64], -v[46:47]
	v_add_f64_e64 v[95:96], v[61:62], -v[44:45]
	;; [unrolled: 1-line block ×4, first 2 shown]
	v_add_f64_e32 v[105:106], v[69:70], v[56:57]
	v_add_f64_e32 v[107:108], v[71:72], v[58:59]
	v_add_f64_e64 v[97:98], v[65:66], -v[52:53]
	v_add_f64_e64 v[99:100], v[67:68], -v[54:55]
	v_add_f64_e32 v[61:62], v[61:62], v[44:45]
	v_add_f64_e32 v[63:64], v[63:64], v[46:47]
	v_add_f64_e64 v[121:122], v[85:86], -v[73:74]
	v_add_f64_e32 v[109:110], v[81:82], v[77:78]
	v_add_f64_e64 v[111:112], v[83:84], -v[79:80]
	v_add_f64_e64 v[113:114], v[81:82], -v[77:78]
	v_add_f64_e32 v[115:116], v[83:84], v[79:80]
	v_add_f64_e32 v[117:118], v[85:86], v[73:74]
	;; [unrolled: 1-line block ×3, first 2 shown]
	v_add_f64_e64 v[123:124], v[87:88], -v[75:76]
	v_add_f64_e32 v[89:90], v[89:90], v[65:66]
	v_add_f64_e32 v[91:92], v[91:92], v[67:68]
	v_mul_f64_e32 v[125:126], s[24:25], v[93:94]
	v_mul_f64_e32 v[127:128], s[24:25], v[95:96]
	;; [unrolled: 1-line block ×12, first 2 shown]
	s_mov_b32 s21, 0x3fed1bb4
	v_add_f64_e32 v[65:66], v[65:66], v[52:53]
	v_add_f64_e32 v[67:68], v[67:68], v[54:55]
	v_mul_f64_e32 v[145:146], s[26:27], v[99:100]
	v_mul_f64_e32 v[147:148], s[26:27], v[97:98]
	v_mul_f64_e32 v[187:188], s[28:29], v[121:122]
	v_mul_f64_e32 v[191:192], s[30:31], v[121:122]
	v_mul_f64_e32 v[195:196], s[26:27], v[121:122]
	v_mul_f64_e32 v[199:200], s[22:23], v[121:122]
	v_mul_f64_e32 v[149:150], s[36:37], v[99:100]
	v_mul_f64_e32 v[151:152], s[36:37], v[97:98]
	v_mul_f64_e32 v[153:154], s[22:23], v[101:102]
	v_mul_f64_e32 v[155:156], s[22:23], v[103:104]
	v_mul_f64_e32 v[157:158], s[34:35], v[101:102]
	v_mul_f64_e32 v[159:160], s[34:35], v[103:104]
	v_mul_f64_e32 v[161:162], s[24:25], v[101:102]
	v_mul_f64_e32 v[163:164], s[24:25], v[103:104]
	v_mul_f64_e32 v[165:166], s[26:27], v[101:102]
	v_mul_f64_e32 v[167:168], s[26:27], v[103:104]
	s_wait_alu 0xfffe
	v_mul_f64_e32 v[101:102], s[20:21], v[101:102]
	v_mul_f64_e32 v[103:104], s[20:21], v[103:104]
	;; [unrolled: 1-line block ×5, first 2 shown]
	v_add_f64_e32 v[69:70], v[89:90], v[69:70]
	v_add_f64_e32 v[71:72], v[91:92], v[71:72]
	v_mul_f64_e32 v[89:90], s[34:35], v[99:100]
	v_mul_f64_e32 v[91:92], s[34:35], v[97:98]
	v_fma_f64 v[201:202], v[61:62], s[12:13], -v[129:130]
	v_fma_f64 v[203:204], v[63:64], s[12:13], v[131:132]
	v_fma_f64 v[129:130], v[61:62], s[12:13], v[129:130]
	v_fma_f64 v[205:206], v[61:62], s[14:15], -v[133:134]
	v_fma_f64 v[207:208], v[63:64], s[14:15], v[135:136]
	v_fma_f64 v[133:134], v[61:62], s[14:15], v[133:134]
	v_fma_f64 v[209:210], v[61:62], s[16:17], -v[137:138]
	v_fma_f64 v[215:216], v[63:64], s[16:17], v[139:140]
	v_mul_f64_e32 v[99:100], s[30:31], v[99:100]
	v_mul_f64_e32 v[97:98], s[30:31], v[97:98]
	v_fma_f64 v[217:218], v[61:62], s[18:19], -v[93:94]
	v_fma_f64 v[219:220], v[63:64], s[18:19], v[95:96]
	v_fma_f64 v[131:132], v[63:64], s[12:13], -v[131:132]
	v_fma_f64 v[135:136], v[63:64], s[14:15], -v[135:136]
	v_fma_f64 v[137:138], v[61:62], s[16:17], v[137:138]
	v_fma_f64 v[139:140], v[63:64], s[16:17], -v[139:140]
	v_fma_f64 v[221:222], v[65:66], s[16:17], -v[145:146]
	v_fma_f64 v[223:224], v[67:68], s[16:17], v[147:148]
	v_fma_f64 v[145:146], v[65:66], s[16:17], v[145:146]
	v_fma_f64 v[229:230], v[65:66], s[14:15], -v[149:150]
	v_fma_f64 v[231:232], v[67:68], s[14:15], v[151:152]
	v_fma_f64 v[147:148], v[67:68], s[16:17], -v[147:148]
	v_fma_f64 v[149:150], v[65:66], s[14:15], v[149:150]
	v_mul_f64_e32 v[175:176], s[36:37], v[113:114]
	v_fma_f64 v[233:234], v[105:106], s[18:19], -v[157:158]
	v_fma_f64 v[235:236], v[107:108], s[18:19], v[159:160]
	v_fma_f64 v[157:158], v[105:106], s[18:19], v[157:158]
	v_fma_f64 v[159:160], v[107:108], s[18:19], -v[159:160]
	v_fma_f64 v[237:238], v[105:106], s[2:3], -v[161:162]
	v_fma_f64 v[239:240], v[107:108], s[2:3], v[163:164]
	v_fma_f64 v[161:162], v[105:106], s[2:3], v[161:162]
	v_fma_f64 v[163:164], v[107:108], s[2:3], -v[163:164]
	v_fma_f64 v[245:246], v[105:106], s[12:13], -v[101:102]
	v_fma_f64 v[247:248], v[107:108], s[12:13], v[103:104]
	v_add_f64_e32 v[69:70], v[69:70], v[81:82]
	v_add_f64_e32 v[71:72], v[71:72], v[83:84]
	v_mul_f64_e32 v[81:82], s[20:21], v[121:122]
	v_fma_f64 v[83:84], v[61:62], s[2:3], -v[125:126]
	v_fma_f64 v[121:122], v[63:64], s[2:3], v[127:128]
	v_fma_f64 v[125:126], v[61:62], s[2:3], v[125:126]
	v_fma_f64 v[127:128], v[63:64], s[2:3], -v[127:128]
	v_fma_f64 v[61:62], v[61:62], s[18:19], v[93:94]
	v_fma_f64 v[63:64], v[63:64], s[18:19], -v[95:96]
	v_fma_f64 v[93:94], v[65:66], s[12:13], -v[141:142]
	v_fma_f64 v[95:96], v[67:68], s[12:13], v[143:144]
	v_fma_f64 v[141:142], v[65:66], s[12:13], v[141:142]
	v_fma_f64 v[143:144], v[67:68], s[12:13], -v[143:144]
	v_add_f64_e32 v[201:202], v[48:49], v[201:202]
	v_add_f64_e32 v[203:204], v[50:51], v[203:204]
	v_fma_f64 v[225:226], v[65:66], s[18:19], -v[89:90]
	v_fma_f64 v[227:228], v[67:68], s[18:19], v[91:92]
	v_add_f64_e32 v[129:130], v[48:49], v[129:130]
	v_add_f64_e32 v[205:206], v[48:49], v[205:206]
	;; [unrolled: 1-line block ×3, first 2 shown]
	v_fma_f64 v[89:90], v[65:66], s[18:19], v[89:90]
	v_add_f64_e32 v[133:134], v[48:49], v[133:134]
	v_add_f64_e32 v[209:210], v[48:49], v[209:210]
	;; [unrolled: 1-line block ×5, first 2 shown]
	v_fma_f64 v[91:92], v[67:68], s[18:19], -v[91:92]
	v_add_f64_e32 v[137:138], v[48:49], v[137:138]
	v_add_f64_e32 v[135:136], v[50:51], v[135:136]
	;; [unrolled: 1-line block ×3, first 2 shown]
	v_fma_f64 v[101:102], v[105:106], s[12:13], v[101:102]
	v_fma_f64 v[103:104], v[107:108], s[12:13], -v[103:104]
	v_mul_f64_e32 v[177:178], s[24:25], v[111:112]
	v_mul_f64_e32 v[179:180], s[24:25], v[113:114]
	;; [unrolled: 1-line block ×6, first 2 shown]
	v_add_f64_e32 v[69:70], v[69:70], v[85:86]
	v_add_f64_e32 v[71:72], v[71:72], v[87:88]
	v_fma_f64 v[85:86], v[67:68], s[14:15], -v[151:152]
	v_add_f64_e32 v[83:84], v[48:49], v[83:84]
	v_fma_f64 v[87:88], v[65:66], s[2:3], -v[99:100]
	v_add_f64_e32 v[125:126], v[48:49], v[125:126]
	v_add_f64_e32 v[127:128], v[50:51], v[127:128]
	v_fma_f64 v[151:152], v[67:68], s[2:3], v[97:98]
	v_fma_f64 v[65:66], v[65:66], s[2:3], v[99:100]
	v_fma_f64 v[67:68], v[67:68], s[2:3], -v[97:98]
	v_add_f64_e32 v[48:49], v[48:49], v[61:62]
	v_add_f64_e32 v[61:62], v[50:51], v[63:64]
	;; [unrolled: 1-line block ×4, first 2 shown]
	v_fma_f64 v[97:98], v[105:106], s[14:15], -v[153:154]
	v_fma_f64 v[99:100], v[107:108], s[14:15], v[155:156]
	v_fma_f64 v[153:154], v[105:106], s[14:15], v[153:154]
	v_fma_f64 v[155:156], v[107:108], s[14:15], -v[155:156]
	v_fma_f64 v[121:122], v[105:106], s[16:17], v[165:166]
	v_fma_f64 v[139:140], v[107:108], s[16:17], -v[167:168]
	v_mul_f64_e32 v[189:190], s[30:31], v[123:124]
	v_add_f64_e32 v[89:90], v[89:90], v[133:134]
	v_add_f64_e32 v[133:134], v[229:230], v[209:210]
	v_fma_f64 v[241:242], v[109:110], s[14:15], -v[173:174]
	v_fma_f64 v[243:244], v[115:116], s[14:15], v[175:176]
	v_mul_f64_e32 v[193:194], s[26:27], v[123:124]
	v_fma_f64 v[173:174], v[109:110], s[14:15], v[173:174]
	v_add_f64_e32 v[137:138], v[149:150], v[137:138]
	v_fma_f64 v[175:176], v[115:116], s[14:15], -v[175:176]
	v_mul_f64_e32 v[185:186], s[28:29], v[123:124]
	v_mul_f64_e32 v[197:198], s[22:23], v[123:124]
	v_mul_f64_e32 v[123:124], s[20:21], v[123:124]
	v_add_f64_e32 v[69:70], v[69:70], v[73:74]
	v_add_f64_e32 v[71:72], v[71:72], v[75:76]
	v_fma_f64 v[73:74], v[105:106], s[16:17], -v[165:166]
	v_fma_f64 v[75:76], v[107:108], s[16:17], v[167:168]
	v_add_f64_e32 v[83:84], v[93:94], v[83:84]
	v_add_f64_e32 v[93:94], v[141:142], v[125:126]
	;; [unrolled: 1-line block ×17, first 2 shown]
	v_fma_f64 v[165:166], v[109:110], s[16:17], -v[169:170]
	v_fma_f64 v[167:168], v[115:116], s[16:17], v[171:172]
	v_fma_f64 v[169:170], v[109:110], s[16:17], v[169:170]
	v_fma_f64 v[171:172], v[115:116], s[16:17], -v[171:172]
	v_fma_f64 v[85:86], v[109:110], s[2:3], v[177:178]
	v_fma_f64 v[91:92], v[115:116], s[2:3], -v[179:180]
	v_fma_f64 v[95:96], v[109:110], s[18:19], -v[181:182]
	v_fma_f64 v[131:132], v[115:116], s[18:19], v[183:184]
	v_fma_f64 v[135:136], v[109:110], s[18:19], v[181:182]
	v_fma_f64 v[147:148], v[115:116], s[18:19], -v[183:184]
	v_fma_f64 v[181:182], v[109:110], s[12:13], -v[111:112]
	v_fma_f64 v[183:184], v[115:116], s[12:13], v[113:114]
	v_add_f64_e32 v[89:90], v[101:102], v[89:90]
	v_add_f64_e32 v[101:102], v[237:238], v[133:134]
	v_fma_f64 v[151:152], v[119:120], s[18:19], v[187:188]
	v_fma_f64 v[149:150], v[117:118], s[18:19], -v[185:186]
	v_fma_f64 v[133:134], v[117:118], s[16:17], v[193:194]
	v_add_f64_e32 v[69:70], v[69:70], v[77:78]
	v_add_f64_e32 v[71:72], v[71:72], v[79:80]
	v_fma_f64 v[77:78], v[109:110], s[2:3], -v[177:178]
	v_fma_f64 v[79:80], v[115:116], s[2:3], v[179:180]
	v_add_f64_e32 v[83:84], v[97:98], v[83:84]
	v_add_f64_e32 v[93:94], v[153:154], v[93:94]
	;; [unrolled: 1-line block ×5, first 2 shown]
	v_fma_f64 v[109:110], v[109:110], s[12:13], v[111:112]
	v_fma_f64 v[111:112], v[115:116], s[12:13], -v[113:114]
	v_add_f64_e32 v[115:116], v[245:246], v[129:130]
	v_add_f64_e32 v[125:126], v[247:248], v[141:142]
	;; [unrolled: 1-line block ×13, first 2 shown]
	v_fma_f64 v[179:180], v[119:120], s[18:19], -v[187:188]
	v_fma_f64 v[99:100], v[119:120], s[2:3], -v[191:192]
	v_fma_f64 v[121:122], v[119:120], s[16:17], v[195:196]
	v_fma_f64 v[137:138], v[119:120], s[16:17], -v[195:196]
	v_fma_f64 v[141:142], v[119:120], s[14:15], v[199:200]
	v_fma_f64 v[145:146], v[119:120], s[14:15], -v[199:200]
	v_fma_f64 v[155:156], v[119:120], s[12:13], v[81:82]
	v_fma_f64 v[103:104], v[117:118], s[16:17], -v[193:194]
	v_fma_f64 v[153:154], v[117:118], s[12:13], -v[123:124]
	v_add_f64_e32 v[85:86], v[85:86], v[89:90]
	v_add_f64_e32 v[89:90], v[95:96], v[101:102]
	v_fma_f64 v[177:178], v[117:118], s[18:19], v[185:186]
	v_fma_f64 v[139:140], v[117:118], s[14:15], -v[197:198]
	v_fma_f64 v[87:88], v[117:118], s[2:3], v[189:190]
	v_add_f64_e32 v[56:57], v[69:70], v[56:57]
	v_add_f64_e32 v[58:59], v[71:72], v[58:59]
	v_fma_f64 v[69:70], v[117:118], s[2:3], -v[189:190]
	v_fma_f64 v[71:72], v[119:120], s[2:3], v[191:192]
	v_fma_f64 v[119:120], v[119:120], s[12:13], -v[81:82]
	v_add_f64_e32 v[81:82], v[165:166], v[83:84]
	v_add_f64_e32 v[83:84], v[169:170], v[93:94]
	;; [unrolled: 1-line block ×5, first 2 shown]
	v_fma_f64 v[143:144], v[117:118], s[14:15], v[197:198]
	v_add_f64_e32 v[77:78], v[77:78], v[115:116]
	v_add_f64_e32 v[79:80], v[79:80], v[125:126]
	;; [unrolled: 1-line block ×8, first 2 shown]
	v_fma_f64 v[117:118], v[117:118], s[12:13], v[123:124]
	v_add_f64_e32 v[101:102], v[135:136], v[129:130]
	v_add_f64_e32 v[63:64], v[147:148], v[63:64]
	;; [unrolled: 1-line block ×5, first 2 shown]
	v_lshlrev_b32_e32 v198, 4, v0
	s_load_b64 s[2:3], s[0:1], 0x38
	v_add_f64_e32 v[73:74], v[153:154], v[89:90]
	v_add_f64_e32 v[125:126], v[56:57], v[52:53]
	;; [unrolled: 1-line block ×21, first 2 shown]
                                        ; implicit-def: $vgpr92_vgpr93
	v_add_f64_e32 v[44:45], v[125:126], v[44:45]
	v_add_f64_e32 v[46:47], v[54:55], v[46:47]
	;; [unrolled: 1-line block ×3, first 2 shown]
	ds_store_b128 v198, v[56:59] offset:32
	ds_store_b128 v198, v[65:68] offset:48
	;; [unrolled: 1-line block ×9, first 2 shown]
	ds_store_b128 v198, v[44:47]
	ds_store_b128 v198, v[52:55] offset:16
	global_wb scope:SCOPE_SE
	s_wait_dscnt 0x0
	s_wait_kmcnt 0x0
	s_barrier_signal -1
	s_barrier_wait -1
	global_inv scope:SCOPE_SE
	ds_load_b128 v[52:55], v214
	ds_load_b128 v[56:59], v214 offset:2464
	ds_load_b128 v[96:99], v214 offset:16016
	;; [unrolled: 1-line block ×9, first 2 shown]
	s_and_saveexec_b32 s0, vcc_lo
	s_cbranch_execz .LBB0_3
; %bb.2:
	ds_load_b128 v[48:51], v214 offset:12320
	ds_load_b128 v[92:95], v214 offset:25872
.LBB0_3:
	s_wait_alu 0xfffe
	s_or_b32 exec_lo, exec_lo, s0
	v_and_b32_e32 v0, 0xff, v213
	v_add_co_u32 v182, null, 0x9a, v213
	v_add_co_u32 v2, null, 0x134, v213
	s_delay_alu instid0(VALU_DEP_3) | instskip(SKIP_1) | instid1(VALU_DEP_4)
	v_mul_lo_u16 v0, 0x75, v0
	v_add_co_u32 v3, null, 0x1ce, v213
	v_and_b32_e32 v4, 0xffff, v182
	v_add_co_u32 v5, null, 0x268, v213
	s_delay_alu instid0(VALU_DEP_4) | instskip(SKIP_1) | instid1(VALU_DEP_4)
	v_lshrrev_b16 v0, 8, v0
	v_and_b32_e32 v6, 0xffff, v2
	v_mul_u32_u24_e32 v4, 0xba2f, v4
	s_delay_alu instid0(VALU_DEP_4) | instskip(NEXT) | instid1(VALU_DEP_4)
	v_and_b32_e32 v7, 0xffff, v5
	v_sub_nc_u16 v1, v213, v0
	s_delay_alu instid0(VALU_DEP_4) | instskip(NEXT) | instid1(VALU_DEP_4)
	v_mul_u32_u24_e32 v6, 0xba2f, v6
	v_lshrrev_b32_e32 v4, 19, v4
	s_delay_alu instid0(VALU_DEP_4) | instskip(NEXT) | instid1(VALU_DEP_4)
	v_mul_u32_u24_e32 v7, 0xba2f, v7
	v_lshrrev_b16 v1, 1, v1
	s_delay_alu instid0(VALU_DEP_4) | instskip(NEXT) | instid1(VALU_DEP_4)
	v_lshrrev_b32_e32 v6, 19, v6
	v_mul_lo_u16 v9, v4, 11
	s_delay_alu instid0(VALU_DEP_4) | instskip(NEXT) | instid1(VALU_DEP_4)
	v_lshrrev_b32_e32 v7, 19, v7
	v_and_b32_e32 v1, 0x7f, v1
	s_delay_alu instid0(VALU_DEP_4) | instskip(NEXT) | instid1(VALU_DEP_4)
	v_mul_lo_u16 v10, v6, 11
	v_sub_nc_u16 v9, v182, v9
	s_delay_alu instid0(VALU_DEP_4) | instskip(NEXT) | instid1(VALU_DEP_4)
	v_mul_lo_u16 v12, v7, 11
	v_add_nc_u16 v0, v1, v0
	v_and_b32_e32 v1, 0xffff, v3
	v_sub_nc_u16 v2, v2, v10
	v_and_b32_e32 v10, 0xffff, v9
	v_sub_nc_u16 v5, v5, v12
	v_lshrrev_b16 v0, 3, v0
	v_mul_u32_u24_e32 v1, 0xba2f, v1
	v_mad_u16 v4, v4, 22, v9
	v_lshlrev_b32_e32 v10, 4, v10
	v_and_b32_e32 v14, 0xffff, v5
	v_mul_lo_u16 v8, v0, 11
	v_lshrrev_b32_e32 v1, 19, v1
	v_and_b32_e32 v0, 0xffff, v0
	v_and_b32_e32 v4, 0xffff, v4
	global_load_b128 v[72:75], v10, s[10:11]
	v_sub_nc_u16 v8, v213, v8
	v_mul_lo_u16 v11, v1, 11
	v_lshlrev_b32_e32 v10, 4, v14
	v_mul_u32_u24_e32 v0, 22, v0
	s_delay_alu instid0(VALU_DEP_4) | instskip(NEXT) | instid1(VALU_DEP_4)
	v_and_b32_e32 v8, 0xff, v8
	v_sub_nc_u16 v3, v3, v11
	v_and_b32_e32 v11, 0xffff, v2
	v_mad_u16 v2, v6, 22, v2
	s_delay_alu instid0(VALU_DEP_4) | instskip(NEXT) | instid1(VALU_DEP_4)
	v_lshlrev_b32_e32 v12, 4, v8
	v_and_b32_e32 v13, 0xffff, v3
	s_delay_alu instid0(VALU_DEP_4)
	v_lshlrev_b32_e32 v11, 4, v11
	v_mad_u16 v1, v1, 22, v3
	v_mad_u16 v3, v7, 22, v5
	global_load_b128 v[68:71], v12, s[10:11]
	v_lshlrev_b32_e32 v12, 4, v13
	v_and_b32_e32 v2, 0xffff, v2
	s_clause 0x1
	global_load_b128 v[76:79], v11, s[10:11]
	global_load_b128 v[64:67], v12, s[10:11]
	v_add_nc_u16 v11, v213, 0x302
	global_load_b128 v[80:83], v10, s[10:11]
	v_and_b32_e32 v1, 0xffff, v1
	v_and_b32_e32 v3, 0xffff, v3
	v_lshlrev_b32_e32 v5, 4, v4
	v_and_b32_e32 v10, 0xffff, v11
	v_lshlrev_b32_e32 v4, 4, v2
	v_lshlrev_b32_e32 v2, 4, v1
	;; [unrolled: 1-line block ×3, first 2 shown]
	v_add_lshl_u32 v0, v0, v8, 4
	v_mul_u32_u24_e32 v10, 0xba2f, v10
	s_delay_alu instid0(VALU_DEP_1) | instskip(SKIP_2) | instid1(VALU_DEP_1)
	v_lshrrev_b32_e32 v10, 19, v10
	scratch_store_b32 off, v10, off offset:216 ; 4-byte Folded Spill
	v_mul_lo_u16 v10, v10, 11
	v_sub_nc_u16 v221, v11, v10
	s_delay_alu instid0(VALU_DEP_1) | instskip(NEXT) | instid1(VALU_DEP_1)
	v_and_b32_e32 v10, 0xffff, v221
	v_lshlrev_b32_e32 v10, 4, v10
	global_load_b128 v[60:63], v10, s[10:11]
	global_wb scope:SCOPE_SE
	s_wait_storecnt 0x0
	s_wait_loadcnt_dscnt 0x0
	s_barrier_signal -1
	s_barrier_wait -1
	global_inv scope:SCOPE_SE
	scratch_store_b32 off, v0, off offset:236 ; 4-byte Folded Spill
	v_mul_f64_e32 v[120:121], v[98:99], v[74:75]
	v_mul_f64_e32 v[122:123], v[96:97], v[74:75]
	;; [unrolled: 1-line block ×10, first 2 shown]
	v_fma_f64 v[112:113], v[112:113], v[68:69], -v[116:117]
	v_fma_f64 v[114:115], v[114:115], v[68:69], v[118:119]
	v_fma_f64 v[116:117], v[96:97], v[72:73], -v[120:121]
	v_fma_f64 v[118:119], v[98:99], v[72:73], v[122:123]
	v_fma_f64 v[120:121], v[100:101], v[76:77], -v[124:125]
	v_fma_f64 v[108:109], v[108:109], v[64:65], -v[128:129]
	v_fma_f64 v[110:111], v[110:111], v[64:65], v[130:131]
	v_fma_f64 v[122:123], v[102:103], v[76:77], v[126:127]
	v_fma_f64 v[124:125], v[104:105], v[80:81], -v[132:133]
	v_mul_f64_e32 v[128:129], v[94:95], v[62:63]
	v_mul_f64_e32 v[130:131], v[92:93], v[62:63]
	v_fma_f64 v[126:127], v[106:107], v[80:81], v[134:135]
	v_add_f64_e64 v[96:97], v[52:53], -v[112:113]
	v_add_f64_e64 v[98:99], v[54:55], -v[114:115]
	;; [unrolled: 1-line block ×9, first 2 shown]
	v_fma_f64 v[92:93], v[92:93], v[60:61], -v[128:129]
	v_fma_f64 v[94:95], v[94:95], v[60:61], v[130:131]
	v_add_f64_e64 v[114:115], v[46:47], -v[126:127]
	v_fma_f64 v[52:53], v[52:53], 2.0, -v[96:97]
	v_fma_f64 v[54:55], v[54:55], 2.0, -v[98:99]
	;; [unrolled: 1-line block ×9, first 2 shown]
	v_add_f64_e64 v[156:157], v[48:49], -v[92:93]
	v_add_f64_e64 v[158:159], v[50:51], -v[94:95]
	v_fma_f64 v[46:47], v[46:47], 2.0, -v[114:115]
	ds_store_b128 v0, v[52:55]
	ds_store_b128 v0, v[96:99] offset:176
	ds_store_b128 v5, v[56:59]
	scratch_store_b32 off, v5, off offset:232 ; 4-byte Folded Spill
	ds_store_b128 v5, v[100:103] offset:176
	ds_store_b128 v4, v[88:91]
	scratch_store_b32 off, v4, off offset:228 ; 4-byte Folded Spill
	;; [unrolled: 3-line block ×4, first 2 shown]
	ds_store_b128 v1, v[112:115] offset:176
	s_and_saveexec_b32 s0, vcc_lo
	s_cbranch_execz .LBB0_5
; %bb.4:
	scratch_load_b32 v0, off, off offset:216 ; 4-byte Folded Reload
	v_fma_f64 v[46:47], v[50:51], 2.0, -v[158:159]
	v_fma_f64 v[44:45], v[48:49], 2.0, -v[156:157]
	s_wait_loadcnt 0x0
	v_mad_u16 v0, v0, 22, v221
	s_delay_alu instid0(VALU_DEP_1) | instskip(NEXT) | instid1(VALU_DEP_1)
	v_and_b32_e32 v0, 0xffff, v0
	v_lshlrev_b32_e32 v0, 4, v0
	ds_store_b128 v0, v[44:47]
	ds_store_b128 v0, v[156:159] offset:176
.LBB0_5:
	s_wait_alu 0xfffe
	s_or_b32 exec_lo, exec_lo, s0
	v_lshrrev_b16 v0, 1, v213
	global_wb scope:SCOPE_SE
	s_wait_storecnt_dscnt 0x0
	s_barrier_signal -1
	s_barrier_wait -1
	global_inv scope:SCOPE_SE
	v_and_b32_e32 v0, 0x7f, v0
	s_mov_b32 s28, 0xf8bb580b
	s_mov_b32 s20, 0xbb3a28a1
	;; [unrolled: 1-line block ×4, first 2 shown]
	v_mul_lo_u16 v0, 0xbb, v0
	s_mov_b32 s27, 0xbfed1bb4
	s_mov_b32 s26, 0x8eee2c13
	;; [unrolled: 1-line block ×4, first 2 shown]
	v_lshrrev_b16 v100, 11, v0
	s_mov_b32 s24, 0x8764f0ba
	s_mov_b32 s14, 0xd9c712b6
	;; [unrolled: 1-line block ×4, first 2 shown]
	v_mul_lo_u16 v0, v100, 22
	s_mov_b32 s0, 0x9bcd5057
	s_mov_b32 s25, 0x3feaeb8c
	;; [unrolled: 1-line block ×4, first 2 shown]
	v_sub_nc_u16 v0, v213, v0
	s_mov_b32 s13, 0xbfe4f49e
	s_mov_b32 s1, 0xbfeeb42a
	s_mov_b32 s31, 0x3fd207e7
	s_wait_alu 0xfffe
	s_mov_b32 s30, s18
	v_and_b32_e32 v101, 0xff, v0
	s_mov_b32 s35, 0x3fefac9e
	s_mov_b32 s34, s22
	;; [unrolled: 1-line block ×4, first 2 shown]
	v_mad_co_u64_u32 v[92:93], null, 0xa0, v101, s[10:11]
	s_clause 0x3
	global_load_b128 v[44:47], v[92:93], off offset:176
	global_load_b128 v[48:51], v[92:93], off offset:320
	;; [unrolled: 1-line block ×4, first 2 shown]
	ds_load_b128 v[88:91], v214 offset:2464
	ds_load_b128 v[84:87], v214 offset:24640
	ds_load_b128 v[94:97], v214
	s_wait_loadcnt_dscnt 0x302
	v_mul_f64_e32 v[98:99], v[90:91], v[46:47]
	v_mul_f64_e32 v[102:103], v[88:89], v[46:47]
	s_wait_loadcnt_dscnt 0x201
	v_mul_f64_e32 v[104:105], v[84:85], v[50:51]
	v_mul_f64_e32 v[106:107], v[86:87], v[50:51]
	s_delay_alu instid0(VALU_DEP_4) | instskip(NEXT) | instid1(VALU_DEP_4)
	v_fma_f64 v[98:99], v[88:89], v[44:45], -v[98:99]
	v_fma_f64 v[102:103], v[90:91], v[44:45], v[102:103]
	ds_load_b128 v[88:91], v214 offset:4928
	v_fma_f64 v[146:147], v[86:87], v[48:49], v[104:105]
	v_fma_f64 v[144:145], v[84:85], v[48:49], -v[106:107]
	ds_load_b128 v[84:87], v214 offset:7392
	s_wait_loadcnt_dscnt 0x101
	v_mul_f64_e32 v[104:105], v[90:91], v[54:55]
	v_add_f64_e32 v[189:190], v[102:103], v[146:147]
	s_delay_alu instid0(VALU_DEP_2) | instskip(SKIP_1) | instid1(VALU_DEP_1)
	v_fma_f64 v[148:149], v[88:89], v[52:53], -v[104:105]
	v_mul_f64_e32 v[88:89], v[88:89], v[54:55]
	v_fma_f64 v[150:151], v[90:91], v[52:53], v[88:89]
	ds_load_b128 v[88:91], v214 offset:22176
	ds_load_b128 v[112:115], v214 offset:19712
	s_wait_loadcnt_dscnt 0x1
	v_mul_f64_e32 v[104:105], v[88:89], v[58:59]
	s_delay_alu instid0(VALU_DEP_1)
	v_fma_f64 v[152:153], v[90:91], v[56:57], v[104:105]
	s_clause 0x3
	global_load_b128 v[128:131], v[92:93], off offset:208
	global_load_b128 v[104:107], v[92:93], off offset:224
	;; [unrolled: 1-line block ×4, first 2 shown]
	v_mul_f64_e32 v[90:91], v[90:91], v[58:59]
	v_add_f64_e32 v[222:223], v[150:151], v[152:153]
	s_delay_alu instid0(VALU_DEP_2) | instskip(NEXT) | instid1(VALU_DEP_1)
	v_fma_f64 v[154:155], v[88:89], v[56:57], -v[90:91]
	v_add_f64_e32 v[207:208], v[148:149], v[154:155]
	s_wait_loadcnt 0x3
	v_mul_f64_e32 v[88:89], v[86:87], v[130:131]
	s_delay_alu instid0(VALU_DEP_1) | instskip(SKIP_1) | instid1(VALU_DEP_1)
	v_fma_f64 v[164:165], v[84:85], v[128:129], -v[88:89]
	v_mul_f64_e32 v[84:85], v[84:85], v[130:131]
	v_fma_f64 v[166:167], v[86:87], v[128:129], v[84:85]
	s_wait_loadcnt_dscnt 0x100
	v_mul_f64_e32 v[84:85], v[112:113], v[122:123]
	s_delay_alu instid0(VALU_DEP_1) | instskip(SKIP_1) | instid1(VALU_DEP_2)
	v_fma_f64 v[168:169], v[114:115], v[120:121], v[84:85]
	v_mul_f64_e32 v[84:85], v[114:115], v[122:123]
	v_add_f64_e64 v[226:227], v[166:167], -v[168:169]
	s_delay_alu instid0(VALU_DEP_2)
	v_fma_f64 v[170:171], v[112:113], v[120:121], -v[84:85]
	ds_load_b128 v[84:87], v214 offset:9856
	ds_load_b128 v[88:91], v214 offset:12320
	v_add_f64_e32 v[232:233], v[166:167], v[168:169]
	s_wait_dscnt 0x1
	v_mul_f64_e32 v[112:113], v[86:87], v[106:107]
	v_mul_f64_e32 v[24:25], s[28:29], v[226:227]
	v_add_f64_e32 v[228:229], v[164:165], v[170:171]
	v_add_f64_e64 v[230:231], v[164:165], -v[170:171]
	s_delay_alu instid0(VALU_DEP_4) | instskip(SKIP_1) | instid1(VALU_DEP_4)
	v_fma_f64 v[172:173], v[84:85], v[104:105], -v[112:113]
	v_mul_f64_e32 v[84:85], v[84:85], v[106:107]
	v_fma_f64 v[26:27], v[228:229], s[24:25], -v[24:25]
	s_wait_alu 0xfffe
	s_delay_alu instid0(VALU_DEP_4) | instskip(NEXT) | instid1(VALU_DEP_3)
	v_mul_f64_e32 v[234:235], s[30:31], v[230:231]
	v_fma_f64 v[174:175], v[86:87], v[104:105], v[84:85]
	ds_load_b128 v[84:87], v214 offset:17248
	ds_load_b128 v[112:115], v214 offset:14784
	s_wait_loadcnt_dscnt 0x1
	v_mul_f64_e32 v[116:117], v[86:87], v[110:111]
	s_delay_alu instid0(VALU_DEP_1)
	v_fma_f64 v[176:177], v[84:85], v[108:109], -v[116:117]
	s_clause 0x1
	global_load_b128 v[124:127], v[92:93], off offset:240
	global_load_b128 v[116:119], v[92:93], off offset:256
	v_mul_f64_e32 v[84:85], v[84:85], v[110:111]
	global_wb scope:SCOPE_SE
	s_wait_loadcnt_dscnt 0x0
	s_barrier_signal -1
	s_barrier_wait -1
	global_inv scope:SCOPE_SE
	v_add_f64_e32 v[238:239], v[172:173], v[176:177]
	v_add_f64_e64 v[242:243], v[172:173], -v[176:177]
	v_fma_f64 v[178:179], v[86:87], v[108:109], v[84:85]
	s_delay_alu instid0(VALU_DEP_2) | instskip(NEXT) | instid1(VALU_DEP_2)
	v_mul_f64_e32 v[246:247], s[34:35], v[242:243]
	v_add_f64_e64 v[236:237], v[174:175], -v[178:179]
	v_add_f64_e32 v[244:245], v[174:175], v[178:179]
	s_delay_alu instid0(VALU_DEP_2) | instskip(SKIP_2) | instid1(VALU_DEP_2)
	v_mul_f64_e32 v[240:241], s[34:35], v[236:237]
	v_mul_f64_e32 v[12:13], s[28:29], v[236:237]
	;; [unrolled: 1-line block ×3, first 2 shown]
	v_fma_f64 v[14:15], v[238:239], s[24:25], -v[12:13]
	s_delay_alu instid0(VALU_DEP_2) | instskip(SKIP_1) | instid1(VALU_DEP_1)
	v_fma_f64 v[30:31], v[238:239], s[0:1], -v[28:29]
	v_mul_f64_e32 v[84:85], v[90:91], v[126:127]
	v_fma_f64 v[180:181], v[88:89], v[124:125], -v[84:85]
	v_mul_f64_e32 v[84:85], v[88:89], v[126:127]
	s_delay_alu instid0(VALU_DEP_1) | instskip(SKIP_1) | instid1(VALU_DEP_1)
	v_fma_f64 v[183:184], v[90:91], v[124:125], v[84:85]
	v_mul_f64_e32 v[84:85], v[114:115], v[118:119]
	v_fma_f64 v[185:186], v[112:113], v[116:117], -v[84:85]
	v_mul_f64_e32 v[84:85], v[112:113], v[118:119]
	v_add_f64_e32 v[112:113], v[98:99], v[144:145]
	s_delay_alu instid0(VALU_DEP_3) | instskip(NEXT) | instid1(VALU_DEP_3)
	v_add_f64_e32 v[250:251], v[180:181], v[185:186]
	v_fma_f64 v[187:188], v[114:115], v[116:117], v[84:85]
	v_add_f64_e64 v[84:85], v[102:103], -v[146:147]
	v_add_f64_e32 v[102:103], v[96:97], v[102:103]
	v_add_f64_e64 v[254:255], v[180:181], -v[185:186]
	s_delay_alu instid0(VALU_DEP_4) | instskip(NEXT) | instid1(VALU_DEP_4)
	v_add_f64_e64 v[248:249], v[183:184], -v[187:188]
	v_mul_f64_e32 v[86:87], s[28:29], v[84:85]
	v_mul_f64_e32 v[88:89], s[26:27], v[84:85]
	;; [unrolled: 1-line block ×5, first 2 shown]
	v_add_f64_e32 v[217:218], v[183:184], v[187:188]
	v_mul_f64_e32 v[219:220], s[36:37], v[254:255]
	v_mul_f64_e32 v[252:253], s[36:37], v[248:249]
	v_fma_f64 v[114:115], v[112:113], s[24:25], -v[86:87]
	v_fma_f64 v[86:87], v[112:113], s[24:25], v[86:87]
	v_fma_f64 v[132:133], v[112:113], s[14:15], -v[88:89]
	v_fma_f64 v[88:89], v[112:113], s[14:15], v[88:89]
	;; [unrolled: 2-line block ×5, first 2 shown]
	v_add_f64_e64 v[112:113], v[98:99], -v[144:145]
	v_mul_f64_e32 v[16:17], s[20:21], v[248:249]
	v_mul_f64_e32 v[40:41], s[22:23], v[248:249]
	v_add_f64_e32 v[203:204], v[94:95], v[114:115]
	v_add_f64_e32 v[205:206], v[94:95], v[86:87]
	;; [unrolled: 1-line block ×6, first 2 shown]
	v_mul_f64_e32 v[140:141], s[28:29], v[112:113]
	v_mul_f64_e32 v[142:143], s[26:27], v[112:113]
	;; [unrolled: 1-line block ×5, first 2 shown]
	v_fma_f64 v[18:19], v[250:251], s[12:13], -v[16:17]
	v_fma_f64 v[42:43], v[250:251], s[16:17], -v[40:41]
	;; [unrolled: 1-line block ×3, first 2 shown]
	v_fma_f64 v[191:192], v[189:190], s[14:15], v[142:143]
	v_fma_f64 v[142:143], v[189:190], s[14:15], -v[142:143]
	v_fma_f64 v[193:194], v[189:190], s[16:17], v[160:161]
	v_fma_f64 v[160:161], v[189:190], s[16:17], -v[160:161]
	;; [unrolled: 2-line block ×4, first 2 shown]
	v_fma_f64 v[140:141], v[189:190], s[24:25], v[140:141]
	v_add_f64_e32 v[189:190], v[94:95], v[98:99]
	v_add_f64_e32 v[201:202], v[96:97], v[201:202]
	;; [unrolled: 1-line block ×13, first 2 shown]
	v_add_f64_e64 v[96:97], v[150:151], -v[152:153]
	v_add_f64_e64 v[160:161], v[148:149], -v[154:155]
	v_add_f64_e32 v[193:194], v[94:95], v[90:91]
	v_add_f64_e32 v[94:95], v[94:95], v[84:85]
	s_delay_alu instid0(VALU_DEP_4) | instskip(NEXT) | instid1(VALU_DEP_4)
	v_mul_f64_e32 v[209:210], s[20:21], v[96:97]
	v_mul_f64_e32 v[224:225], s[20:21], v[160:161]
	;; [unrolled: 1-line block ×5, first 2 shown]
	s_mov_b32 s27, 0x3fed1bb4
	v_mul_f64_e32 v[211:212], s[30:31], v[160:161]
	s_wait_alu 0xfffe
	v_mul_f64_e32 v[4:5], s[26:27], v[226:227]
	v_mul_f64_e32 v[8:9], s[26:27], v[230:231]
	;; [unrolled: 1-line block ×5, first 2 shown]
	v_fma_f64 v[84:85], v[207:208], s[12:13], -v[209:210]
	v_fma_f64 v[6:7], v[228:229], s[14:15], -v[4:5]
	v_fma_f64 v[10:11], v[232:233], s[14:15], v[8:9]
	v_fma_f64 v[22:23], v[222:223], s[16:17], v[20:21]
	v_fma_f64 v[34:35], v[250:251], s[14:15], -v[32:33]
	v_fma_f64 v[38:39], v[244:245], s[14:15], v[36:37]
	v_fma_f64 v[36:37], v[244:245], s[14:15], -v[36:37]
	v_fma_f64 v[20:21], v[222:223], s[16:17], -v[20:21]
	v_fma_f64 v[4:5], v[228:229], s[14:15], v[4:5]
	v_fma_f64 v[8:9], v[232:233], s[14:15], -v[8:9]
	v_add_f64_e32 v[84:85], v[84:85], v[86:87]
	v_fma_f64 v[86:87], v[222:223], s[12:13], v[224:225]
	v_add_f64_e32 v[22:23], v[22:23], v[134:135]
	v_add_f64_e32 v[20:21], v[20:21], v[162:163]
	s_delay_alu instid0(VALU_DEP_3) | instskip(SKIP_1) | instid1(VALU_DEP_1)
	v_add_f64_e32 v[86:87], v[86:87], v[98:99]
	v_mul_f64_e32 v[98:99], s[30:31], v[226:227]
	v_fma_f64 v[90:91], v[228:229], s[0:1], -v[98:99]
	s_delay_alu instid0(VALU_DEP_1) | instskip(SKIP_1) | instid1(VALU_DEP_1)
	v_add_f64_e32 v[84:85], v[90:91], v[84:85]
	v_fma_f64 v[90:91], v[232:233], s[0:1], v[234:235]
	v_add_f64_e32 v[86:87], v[90:91], v[86:87]
	v_fma_f64 v[90:91], v[238:239], s[16:17], -v[240:241]
	s_delay_alu instid0(VALU_DEP_1) | instskip(SKIP_1) | instid1(VALU_DEP_1)
	v_add_f64_e32 v[84:85], v[90:91], v[84:85]
	v_fma_f64 v[90:91], v[244:245], s[16:17], v[246:247]
	v_add_f64_e32 v[86:87], v[90:91], v[86:87]
	v_fma_f64 v[90:91], v[250:251], s[24:25], -v[252:253]
	s_delay_alu instid0(VALU_DEP_1) | instskip(SKIP_1) | instid1(VALU_DEP_1)
	v_add_f64_e32 v[84:85], v[90:91], v[84:85]
	v_fma_f64 v[90:91], v[217:218], s[24:25], v[219:220]
	v_add_f64_e32 v[86:87], v[90:91], v[86:87]
	v_fma_f64 v[90:91], v[207:208], s[0:1], -v[215:216]
	s_delay_alu instid0(VALU_DEP_1) | instskip(SKIP_1) | instid1(VALU_DEP_2)
	v_add_f64_e32 v[88:89], v[90:91], v[88:89]
	v_fma_f64 v[90:91], v[222:223], s[0:1], v[211:212]
	v_add_f64_e32 v[6:7], v[6:7], v[88:89]
	s_delay_alu instid0(VALU_DEP_2) | instskip(NEXT) | instid1(VALU_DEP_2)
	v_add_f64_e32 v[90:91], v[90:91], v[114:115]
	v_add_f64_e32 v[6:7], v[14:15], v[6:7]
	v_mul_f64_e32 v[14:15], s[28:29], v[242:243]
	s_delay_alu instid0(VALU_DEP_3) | instskip(NEXT) | instid1(VALU_DEP_2)
	v_add_f64_e32 v[10:11], v[10:11], v[90:91]
	v_fma_f64 v[88:89], v[244:245], s[24:25], v[14:15]
	s_delay_alu instid0(VALU_DEP_1) | instskip(SKIP_2) | instid1(VALU_DEP_1)
	v_add_f64_e32 v[10:11], v[88:89], v[10:11]
	v_add_f64_e32 v[88:89], v[18:19], v[6:7]
	v_mul_f64_e32 v[6:7], s[20:21], v[254:255]
	v_fma_f64 v[18:19], v[217:218], s[12:13], v[6:7]
	v_fma_f64 v[6:7], v[217:218], s[12:13], -v[6:7]
	s_delay_alu instid0(VALU_DEP_2) | instskip(SKIP_1) | instid1(VALU_DEP_1)
	v_add_f64_e32 v[90:91], v[18:19], v[10:11]
	v_mul_f64_e32 v[10:11], s[34:35], v[96:97]
	v_fma_f64 v[18:19], v[207:208], s[16:17], -v[10:11]
	v_fma_f64 v[10:11], v[207:208], s[16:17], v[10:11]
	s_delay_alu instid0(VALU_DEP_2) | instskip(NEXT) | instid1(VALU_DEP_2)
	v_add_f64_e32 v[18:19], v[18:19], v[132:133]
	v_add_f64_e32 v[10:11], v[10:11], v[92:93]
	s_delay_alu instid0(VALU_DEP_2) | instskip(SKIP_1) | instid1(VALU_DEP_2)
	v_add_f64_e32 v[18:19], v[26:27], v[18:19]
	v_mul_f64_e32 v[26:27], s[28:29], v[230:231]
	v_add_f64_e32 v[18:19], v[30:31], v[18:19]
	s_delay_alu instid0(VALU_DEP_2) | instskip(SKIP_1) | instid1(VALU_DEP_2)
	v_fma_f64 v[112:113], v[232:233], s[24:25], v[26:27]
	v_mul_f64_e32 v[30:31], s[18:19], v[242:243]
	v_add_f64_e32 v[22:23], v[112:113], v[22:23]
	s_delay_alu instid0(VALU_DEP_2) | instskip(NEXT) | instid1(VALU_DEP_1)
	v_fma_f64 v[112:113], v[244:245], s[0:1], v[30:31]
	v_add_f64_e32 v[22:23], v[112:113], v[22:23]
	v_add_f64_e32 v[112:113], v[34:35], v[18:19]
	v_mul_f64_e32 v[18:19], s[26:27], v[254:255]
	s_delay_alu instid0(VALU_DEP_1) | instskip(SKIP_1) | instid1(VALU_DEP_2)
	v_fma_f64 v[34:35], v[217:218], s[14:15], v[18:19]
	v_fma_f64 v[18:19], v[217:218], s[14:15], -v[18:19]
	v_add_f64_e32 v[114:115], v[34:35], v[22:23]
	v_mul_f64_e32 v[22:23], s[36:37], v[96:97]
	v_mul_f64_e32 v[96:97], s[36:37], v[160:161]
	;; [unrolled: 1-line block ×3, first 2 shown]
	s_delay_alu instid0(VALU_DEP_3) | instskip(NEXT) | instid1(VALU_DEP_3)
	v_fma_f64 v[34:35], v[207:208], s[24:25], -v[22:23]
	v_fma_f64 v[132:133], v[222:223], s[24:25], v[96:97]
	v_fma_f64 v[22:23], v[207:208], s[24:25], v[22:23]
	s_delay_alu instid0(VALU_DEP_3) | instskip(SKIP_1) | instid1(VALU_DEP_4)
	v_add_f64_e32 v[34:35], v[34:35], v[136:137]
	v_mul_f64_e32 v[136:137], s[20:21], v[226:227]
	v_add_f64_e32 v[132:133], v[132:133], v[138:139]
	v_mul_f64_e32 v[138:139], s[20:21], v[230:231]
	v_add_f64_e32 v[22:23], v[22:23], v[94:95]
	s_delay_alu instid0(VALU_DEP_4) | instskip(NEXT) | instid1(VALU_DEP_1)
	v_fma_f64 v[134:135], v[228:229], s[12:13], -v[136:137]
	v_add_f64_e32 v[34:35], v[134:135], v[34:35]
	s_delay_alu instid0(VALU_DEP_4) | instskip(NEXT) | instid1(VALU_DEP_1)
	v_fma_f64 v[134:135], v[232:233], s[12:13], v[138:139]
	v_add_f64_e32 v[132:133], v[134:135], v[132:133]
	v_fma_f64 v[134:135], v[238:239], s[14:15], -v[160:161]
	s_delay_alu instid0(VALU_DEP_2) | instskip(NEXT) | instid1(VALU_DEP_2)
	v_add_f64_e32 v[38:39], v[38:39], v[132:133]
	v_add_f64_e32 v[34:35], v[134:135], v[34:35]
	s_delay_alu instid0(VALU_DEP_1) | instskip(SKIP_1) | instid1(VALU_DEP_1)
	v_add_f64_e32 v[132:133], v[42:43], v[34:35]
	v_mul_f64_e32 v[34:35], s[22:23], v[254:255]
	v_fma_f64 v[42:43], v[217:218], s[16:17], v[34:35]
	v_fma_f64 v[34:35], v[217:218], s[16:17], -v[34:35]
	s_delay_alu instid0(VALU_DEP_2) | instskip(SKIP_2) | instid1(VALU_DEP_2)
	v_add_f64_e32 v[134:135], v[42:43], v[38:39]
	v_fma_f64 v[38:39], v[222:223], s[24:25], -v[96:97]
	v_fma_f64 v[42:43], v[228:229], s[12:13], v[136:137]
	v_add_f64_e32 v[38:39], v[38:39], v[195:196]
	s_delay_alu instid0(VALU_DEP_2) | instskip(SKIP_1) | instid1(VALU_DEP_1)
	v_add_f64_e32 v[22:23], v[42:43], v[22:23]
	v_fma_f64 v[42:43], v[232:233], s[12:13], -v[138:139]
	v_add_f64_e32 v[38:39], v[42:43], v[38:39]
	v_fma_f64 v[42:43], v[238:239], s[14:15], v[160:161]
	s_delay_alu instid0(VALU_DEP_2) | instskip(NEXT) | instid1(VALU_DEP_2)
	v_add_f64_e32 v[36:37], v[36:37], v[38:39]
	v_add_f64_e32 v[22:23], v[42:43], v[22:23]
	v_fma_f64 v[38:39], v[250:251], s[16:17], v[40:41]
	s_delay_alu instid0(VALU_DEP_3) | instskip(NEXT) | instid1(VALU_DEP_2)
	v_add_f64_e32 v[138:139], v[34:35], v[36:37]
	v_add_f64_e32 v[136:137], v[38:39], v[22:23]
	v_fma_f64 v[22:23], v[228:229], s[24:25], v[24:25]
	s_delay_alu instid0(VALU_DEP_1) | instskip(SKIP_1) | instid1(VALU_DEP_1)
	v_add_f64_e32 v[10:11], v[22:23], v[10:11]
	v_fma_f64 v[22:23], v[232:233], s[24:25], -v[26:27]
	v_add_f64_e32 v[20:21], v[22:23], v[20:21]
	v_fma_f64 v[22:23], v[238:239], s[0:1], v[28:29]
	s_delay_alu instid0(VALU_DEP_1) | instskip(SKIP_1) | instid1(VALU_DEP_1)
	v_add_f64_e32 v[10:11], v[22:23], v[10:11]
	v_fma_f64 v[22:23], v[244:245], s[0:1], -v[30:31]
	v_add_f64_e32 v[20:21], v[22:23], v[20:21]
	v_fma_f64 v[22:23], v[250:251], s[14:15], v[32:33]
	s_delay_alu instid0(VALU_DEP_2) | instskip(NEXT) | instid1(VALU_DEP_2)
	v_add_f64_e32 v[162:163], v[18:19], v[20:21]
	v_add_f64_e32 v[160:161], v[22:23], v[10:11]
	v_fma_f64 v[10:11], v[207:208], s[0:1], v[215:216]
	v_fma_f64 v[18:19], v[222:223], s[0:1], -v[211:212]
	s_delay_alu instid0(VALU_DEP_2) | instskip(NEXT) | instid1(VALU_DEP_2)
	v_add_f64_e32 v[10:11], v[10:11], v[193:194]
	v_add_f64_e32 v[18:19], v[18:19], v[199:200]
	s_delay_alu instid0(VALU_DEP_2) | instskip(SKIP_1) | instid1(VALU_DEP_3)
	v_add_f64_e32 v[4:5], v[4:5], v[10:11]
	v_fma_f64 v[10:11], v[238:239], s[24:25], v[12:13]
	v_add_f64_e32 v[8:9], v[8:9], v[18:19]
	v_mul_f64_e32 v[18:19], s[18:19], v[254:255]
	s_delay_alu instid0(VALU_DEP_3) | instskip(SKIP_1) | instid1(VALU_DEP_1)
	v_add_f64_e32 v[4:5], v[10:11], v[4:5]
	v_fma_f64 v[10:11], v[244:245], s[24:25], -v[14:15]
	v_add_f64_e32 v[8:9], v[10:11], v[8:9]
	v_fma_f64 v[10:11], v[250:251], s[12:13], v[16:17]
	s_delay_alu instid0(VALU_DEP_2) | instskip(NEXT) | instid1(VALU_DEP_2)
	v_add_f64_e32 v[94:95], v[6:7], v[8:9]
	v_add_f64_e32 v[92:93], v[10:11], v[4:5]
	v_fma_f64 v[4:5], v[207:208], s[12:13], v[209:210]
	v_fma_f64 v[6:7], v[222:223], s[12:13], -v[224:225]
	v_fma_f64 v[8:9], v[228:229], s[0:1], v[98:99]
	v_fma_f64 v[10:11], v[217:218], s[24:25], -v[219:220]
	s_delay_alu instid0(VALU_DEP_4) | instskip(NEXT) | instid1(VALU_DEP_4)
	v_add_f64_e32 v[4:5], v[4:5], v[191:192]
	v_add_f64_e32 v[6:7], v[6:7], v[142:143]
	s_delay_alu instid0(VALU_DEP_2) | instskip(SKIP_1) | instid1(VALU_DEP_1)
	v_add_f64_e32 v[4:5], v[8:9], v[4:5]
	v_fma_f64 v[8:9], v[232:233], s[0:1], -v[234:235]
	v_add_f64_e32 v[6:7], v[8:9], v[6:7]
	v_fma_f64 v[8:9], v[238:239], s[16:17], v[240:241]
	s_delay_alu instid0(VALU_DEP_1) | instskip(SKIP_1) | instid1(VALU_DEP_1)
	v_add_f64_e32 v[4:5], v[8:9], v[4:5]
	v_fma_f64 v[8:9], v[244:245], s[16:17], -v[246:247]
	v_add_f64_e32 v[6:7], v[8:9], v[6:7]
	v_fma_f64 v[8:9], v[250:251], s[24:25], v[252:253]
	s_delay_alu instid0(VALU_DEP_2) | instskip(NEXT) | instid1(VALU_DEP_2)
	v_add_f64_e32 v[98:99], v[10:11], v[6:7]
	v_add_f64_e32 v[96:97], v[8:9], v[4:5]
	v_fma_f64 v[4:5], v[207:208], s[14:15], -v[0:1]
	v_mul_f64_e32 v[8:9], s[22:23], v[226:227]
	v_fma_f64 v[6:7], v[222:223], s[14:15], v[2:3]
	v_fma_f64 v[0:1], v[207:208], s[14:15], v[0:1]
	v_fma_f64 v[2:3], v[222:223], s[14:15], -v[2:3]
	v_add_f64_e32 v[4:5], v[4:5], v[203:204]
	v_fma_f64 v[10:11], v[228:229], s[16:17], -v[8:9]
	v_add_f64_e32 v[6:7], v[6:7], v[140:141]
	v_add_f64_e32 v[0:1], v[0:1], v[205:206]
	;; [unrolled: 1-line block ×3, first 2 shown]
	s_delay_alu instid0(VALU_DEP_4) | instskip(SKIP_1) | instid1(VALU_DEP_1)
	v_add_f64_e32 v[4:5], v[10:11], v[4:5]
	v_mul_f64_e32 v[10:11], s[22:23], v[230:231]
	v_fma_f64 v[12:13], v[232:233], s[16:17], v[10:11]
	s_delay_alu instid0(VALU_DEP_1) | instskip(SKIP_1) | instid1(VALU_DEP_1)
	v_add_f64_e32 v[6:7], v[12:13], v[6:7]
	v_mul_f64_e32 v[12:13], s[20:21], v[236:237]
	v_fma_f64 v[14:15], v[238:239], s[12:13], -v[12:13]
	s_delay_alu instid0(VALU_DEP_1) | instskip(SKIP_1) | instid1(VALU_DEP_1)
	v_add_f64_e32 v[4:5], v[14:15], v[4:5]
	v_mul_f64_e32 v[14:15], s[20:21], v[242:243]
	v_fma_f64 v[16:17], v[244:245], s[12:13], v[14:15]
	s_delay_alu instid0(VALU_DEP_1) | instskip(SKIP_1) | instid1(VALU_DEP_1)
	v_add_f64_e32 v[6:7], v[16:17], v[6:7]
	v_mul_f64_e32 v[16:17], s[18:19], v[248:249]
	v_fma_f64 v[20:21], v[250:251], s[0:1], -v[16:17]
	s_delay_alu instid0(VALU_DEP_1) | instskip(SKIP_1) | instid1(VALU_DEP_1)
	v_add_f64_e32 v[140:141], v[20:21], v[4:5]
	v_fma_f64 v[4:5], v[217:218], s[0:1], v[18:19]
	v_add_f64_e32 v[142:143], v[4:5], v[6:7]
	v_add_f64_e32 v[4:5], v[189:190], v[148:149]
	;; [unrolled: 1-line block ×3, first 2 shown]
	s_delay_alu instid0(VALU_DEP_2) | instskip(NEXT) | instid1(VALU_DEP_2)
	v_add_f64_e32 v[4:5], v[4:5], v[164:165]
	v_add_f64_e32 v[6:7], v[6:7], v[166:167]
	s_delay_alu instid0(VALU_DEP_2) | instskip(NEXT) | instid1(VALU_DEP_2)
	v_add_f64_e32 v[4:5], v[4:5], v[172:173]
	v_add_f64_e32 v[6:7], v[6:7], v[174:175]
                                        ; implicit-def: $vgpr172_vgpr173
	s_delay_alu instid0(VALU_DEP_2) | instskip(NEXT) | instid1(VALU_DEP_2)
	v_add_f64_e32 v[4:5], v[4:5], v[180:181]
	v_add_f64_e32 v[6:7], v[6:7], v[183:184]
	s_delay_alu instid0(VALU_DEP_2) | instskip(NEXT) | instid1(VALU_DEP_2)
	v_add_f64_e32 v[4:5], v[4:5], v[185:186]
	v_add_f64_e32 v[6:7], v[6:7], v[187:188]
	;; [unrolled: 3-line block ×3, first 2 shown]
                                        ; implicit-def: $vgpr176_vgpr177
	s_delay_alu instid0(VALU_DEP_2) | instskip(NEXT) | instid1(VALU_DEP_2)
	v_add_f64_e32 v[4:5], v[4:5], v[170:171]
	v_add_f64_e32 v[6:7], v[6:7], v[168:169]
	s_delay_alu instid0(VALU_DEP_2) | instskip(NEXT) | instid1(VALU_DEP_2)
	v_add_f64_e32 v[4:5], v[4:5], v[154:155]
	v_add_f64_e32 v[6:7], v[6:7], v[152:153]
	;; [unrolled: 3-line block ×3, first 2 shown]
	v_fma_f64 v[4:5], v[228:229], s[16:17], v[8:9]
	v_fma_f64 v[6:7], v[232:233], s[16:17], -v[10:11]
	v_fma_f64 v[8:9], v[238:239], s[12:13], v[12:13]
	v_fma_f64 v[10:11], v[244:245], s[12:13], -v[14:15]
	s_delay_alu instid0(VALU_DEP_4) | instskip(NEXT) | instid1(VALU_DEP_4)
	v_add_f64_e32 v[0:1], v[4:5], v[0:1]
	v_add_f64_e32 v[2:3], v[6:7], v[2:3]
	v_fma_f64 v[4:5], v[250:251], s[0:1], v[16:17]
	v_fma_f64 v[6:7], v[217:218], s[0:1], -v[18:19]
	v_add_co_u32 v180, s1, s8, v214
	v_cmp_gt_u16_e64 s0, 0x58, v213
	s_wait_alu 0xf1ff
	v_add_co_ci_u32_e64 v181, null, s9, 0, s1
	v_add_f64_e32 v[0:1], v[8:9], v[0:1]
	v_add_f64_e32 v[2:3], v[10:11], v[2:3]
	s_delay_alu instid0(VALU_DEP_2) | instskip(NEXT) | instid1(VALU_DEP_2)
	v_add_f64_e32 v[168:169], v[4:5], v[0:1]
	v_add_f64_e32 v[170:171], v[6:7], v[2:3]
	v_and_b32_e32 v0, 0xffff, v100
	s_delay_alu instid0(VALU_DEP_1) | instskip(NEXT) | instid1(VALU_DEP_1)
	v_mul_u32_u24_e32 v0, 0xf2, v0
	v_add_lshl_u32 v222, v0, v101, 4
	ds_store_b128 v222, v[84:87] offset:704
	ds_store_b128 v222, v[88:91] offset:1056
	ds_store_b128 v222, v[112:115] offset:1408
	ds_store_b128 v222, v[132:135] offset:1760
	ds_store_b128 v222, v[136:139] offset:2112
	ds_store_b128 v222, v[140:143] offset:352
	ds_store_b128 v222, v[144:147]
	ds_store_b128 v222, v[160:163] offset:2464
	ds_store_b128 v222, v[92:95] offset:2816
	;; [unrolled: 1-line block ×4, first 2 shown]
	global_wb scope:SCOPE_SE
	s_wait_dscnt 0x0
	s_barrier_signal -1
	s_barrier_wait -1
	global_inv scope:SCOPE_SE
	ds_load_b128 v[164:167], v214
	ds_load_b128 v[144:147], v214 offset:3872
	ds_load_b128 v[140:143], v214 offset:7744
	;; [unrolled: 1-line block ×6, first 2 shown]
	s_and_saveexec_b32 s1, s0
	s_cbranch_execz .LBB0_7
; %bb.6:
	ds_load_b128 v[160:163], v214 offset:2464
	ds_load_b128 v[92:95], v214 offset:6336
	;; [unrolled: 1-line block ×7, first 2 shown]
.LBB0_7:
	s_wait_alu 0xfffe
	s_or_b32 exec_lo, exec_lo, s1
	v_mad_co_u64_u32 v[0:1], null, 0x60, v213, s[10:11]
	v_add_nc_u32_e32 v24, 0xffffffa8, v213
	s_mov_b32 s16, 0xe976ee23
	s_mov_b32 s17, 0xbfe11646
	;; [unrolled: 1-line block ×4, first 2 shown]
	v_cndmask_b32_e64 v24, v24, v182, s0
	s_clause 0x1
	global_load_b128 v[132:135], v[0:1], off offset:3696
	global_load_b128 v[136:139], v[0:1], off offset:3712
	s_mov_b32 s15, 0x3febfeb5
	s_mov_b32 s13, 0xbff2aaaa
	s_mov_b32 s20, 0x37c3f68c
	v_mul_i32_i24_e32 v25, 0x60, v24
	v_mul_hi_i32_i24_e32 v26, 0x60, v24
	s_mov_b32 s22, 0x37e14327
	s_mov_b32 s21, 0x3fdc38aa
	;; [unrolled: 1-line block ×3, first 2 shown]
	v_add_co_u32 v24, s1, s10, v25
	s_wait_alu 0xf1ff
	v_add_co_ci_u32_e64 v25, s1, s11, v26, s1
	s_mov_b32 s10, 0x36b3c0b5
	s_mov_b32 s11, 0x3fac98ee
	;; [unrolled: 1-line block ×8, first 2 shown]
	s_wait_alu 0xfffe
	s_mov_b32 s28, s26
	s_mov_b32 s24, s18
	s_wait_loadcnt_dscnt 0x105
	v_mul_f64_e32 v[2:3], v[146:147], v[134:135]
	v_mul_f64_e32 v[4:5], v[144:145], v[134:135]
	s_wait_loadcnt_dscnt 0x4
	v_mul_f64_e32 v[6:7], v[142:143], v[138:139]
	v_mul_f64_e32 v[8:9], v[140:141], v[138:139]
	s_delay_alu instid0(VALU_DEP_4) | instskip(NEXT) | instid1(VALU_DEP_4)
	v_fma_f64 v[2:3], v[144:145], v[132:133], -v[2:3]
	v_fma_f64 v[4:5], v[146:147], v[132:133], v[4:5]
	s_delay_alu instid0(VALU_DEP_4) | instskip(NEXT) | instid1(VALU_DEP_4)
	v_fma_f64 v[6:7], v[140:141], v[136:137], -v[6:7]
	v_fma_f64 v[8:9], v[142:143], v[136:137], v[8:9]
	s_clause 0x5
	global_load_b128 v[140:143], v[0:1], off offset:3776
	global_load_b128 v[144:147], v[0:1], off offset:3760
	;; [unrolled: 1-line block ×6, first 2 shown]
	s_wait_loadcnt_dscnt 0x500
	v_mul_f64_e32 v[10:11], v[114:115], v[142:143]
	v_mul_f64_e32 v[12:13], v[112:113], v[142:143]
	s_wait_loadcnt 0x1
	v_mul_f64_e32 v[26:27], v[94:95], v[32:33]
	v_mul_f64_e32 v[28:29], v[92:93], v[32:33]
	scratch_store_b128 off, v[30:33], off offset:240 ; 16-byte Folded Spill
	s_wait_loadcnt 0x0
	scratch_store_b128 off, v[34:37], off offset:256 ; 16-byte Folded Spill
	v_mul_f64_e32 v[32:33], v[96:97], v[36:37]
	v_mul_f64_e32 v[14:15], v[102:103], v[146:147]
	;; [unrolled: 1-line block ×7, first 2 shown]
	v_fma_f64 v[10:11], v[112:113], v[140:141], -v[10:11]
	v_fma_f64 v[12:13], v[114:115], v[140:141], v[12:13]
	v_fma_f64 v[26:27], v[92:93], v[30:31], -v[26:27]
	v_fma_f64 v[28:29], v[94:95], v[30:31], v[28:29]
	v_mul_f64_e32 v[30:31], v[98:99], v[36:37]
	v_fma_f64 v[32:33], v[98:99], v[34:35], v[32:33]
	v_fma_f64 v[14:15], v[100:101], v[144:145], -v[14:15]
	v_fma_f64 v[16:17], v[102:103], v[144:145], v[16:17]
	v_fma_f64 v[0:1], v[88:89], v[148:149], -v[0:1]
	v_fma_f64 v[20:21], v[84:85], v[152:153], -v[20:21]
	v_fma_f64 v[18:19], v[90:91], v[148:149], v[18:19]
	v_fma_f64 v[22:23], v[86:87], v[152:153], v[22:23]
	v_fma_f64 v[30:31], v[96:97], v[34:35], -v[30:31]
	s_clause 0x1
	global_load_b128 v[38:41], v[24:25], off offset:3776
	global_load_b128 v[96:99], v[24:25], off offset:3760
	v_add_f64_e32 v[182:183], v[18:19], v[22:23]
	s_wait_loadcnt 0x1
	scratch_store_b128 off, v[38:41], off offset:272 ; 16-byte Folded Spill
	s_clause 0x1
	global_load_b128 v[100:103], v[24:25], off offset:3728
	global_load_b128 v[112:115], v[24:25], off offset:3744
	v_mul_f64_e32 v[34:35], v[178:179], v[40:41]
	v_mul_f64_e32 v[36:37], v[176:177], v[40:41]
	s_wait_loadcnt 0x2
	v_mul_f64_e32 v[40:41], v[172:173], v[98:99]
	s_delay_alu instid0(VALU_DEP_3) | instskip(NEXT) | instid1(VALU_DEP_3)
	v_fma_f64 v[34:35], v[176:177], v[38:39], -v[34:35]
	v_fma_f64 v[36:37], v[178:179], v[38:39], v[36:37]
	v_mul_f64_e32 v[38:39], v[174:175], v[98:99]
	s_delay_alu instid0(VALU_DEP_4)
	v_fma_f64 v[40:41], v[174:175], v[96:97], v[40:41]
	v_add_f64_e32 v[176:177], v[0:1], v[20:21]
	v_add_f64_e32 v[178:179], v[4:5], v[12:13]
	;; [unrolled: 1-line block ×3, first 2 shown]
	v_add_f64_e64 v[0:1], v[20:21], -v[0:1]
	v_add_f64_e64 v[8:9], v[8:9], -v[16:17]
	;; [unrolled: 1-line block ×3, first 2 shown]
	v_fma_f64 v[38:39], v[172:173], v[96:97], -v[38:39]
	v_add_f64_e64 v[186:187], v[174:175], -v[178:179]
	s_wait_loadcnt 0x1
	v_mul_f64_e32 v[24:25], v[170:171], v[102:103]
	v_mul_f64_e32 v[42:43], v[168:169], v[102:103]
	s_delay_alu instid0(VALU_DEP_2) | instskip(SKIP_2) | instid1(VALU_DEP_3)
	v_fma_f64 v[24:25], v[168:169], v[100:101], -v[24:25]
	s_wait_loadcnt 0x0
	v_mul_f64_e32 v[168:169], v[158:159], v[114:115]
	v_fma_f64 v[42:43], v[170:171], v[100:101], v[42:43]
	v_add_f64_e32 v[170:171], v[6:7], v[14:15]
	v_add_f64_e64 v[6:7], v[6:7], -v[14:15]
	s_delay_alu instid0(VALU_DEP_4)
	v_fma_f64 v[194:195], v[156:157], v[112:113], -v[168:169]
	v_mul_f64_e32 v[156:157], v[156:157], v[114:115]
	v_add_f64_e32 v[168:169], v[2:3], v[10:11]
	v_add_f64_e64 v[2:3], v[2:3], -v[10:11]
	v_add_f64_e64 v[10:11], v[22:23], -v[18:19]
	;; [unrolled: 1-line block ×5, first 2 shown]
	v_fma_f64 v[196:197], v[158:159], v[112:113], v[156:157]
	v_add_f64_e32 v[156:157], v[170:171], v[168:169]
	v_add_f64_e64 v[14:15], v[6:7], -v[2:3]
	v_add_f64_e32 v[6:7], v[0:1], v[6:7]
	v_add_f64_e64 v[16:17], v[10:11], -v[8:9]
	v_mul_f64_e32 v[12:13], s[16:17], v[12:13]
	v_add_f64_e32 v[8:9], v[10:11], v[8:9]
	v_add_f64_e64 v[22:23], v[170:171], -v[168:169]
	v_add_f64_e64 v[168:169], v[168:169], -v[176:177]
	;; [unrolled: 1-line block ×4, first 2 shown]
	v_add_f64_e32 v[172:173], v[176:177], v[156:157]
	v_add_f64_e32 v[156:157], v[174:175], v[178:179]
	;; [unrolled: 1-line block ×3, first 2 shown]
	v_mul_f64_e32 v[16:17], s[16:17], v[16:17]
	v_add_f64_e64 v[176:177], v[178:179], -v[182:183]
	v_add_f64_e32 v[8:9], v[8:9], v[4:5]
	v_add_f64_e64 v[2:3], v[4:5], -v[10:11]
	v_mul_f64_e32 v[4:5], s[14:15], v[14:15]
	v_mul_f64_e32 v[10:11], s[14:15], v[18:19]
	v_add_f64_e32 v[184:185], v[182:183], v[156:157]
	v_add_f64_e32 v[156:157], v[164:165], v[172:173]
	v_mul_f64_e32 v[164:165], s[10:11], v[20:21]
	s_wait_alu 0xfffe
	v_fma_f64 v[4:5], v[0:1], s[28:29], -v[4:5]
	v_fma_f64 v[10:11], v[2:3], s[28:29], -v[10:11]
	v_fma_f64 v[0:1], v[0:1], s[26:27], v[12:13]
	v_fma_f64 v[2:3], v[2:3], s[26:27], v[16:17]
	v_add_f64_e32 v[158:159], v[166:167], v[184:185]
	v_fma_f64 v[188:189], v[172:173], s[12:13], v[156:157]
	v_fma_f64 v[172:173], v[14:15], s[14:15], -v[12:13]
	v_mul_f64_e32 v[14:15], s[22:23], v[168:169]
	v_fma_f64 v[164:165], v[22:23], s[18:19], -v[164:165]
	v_mul_f64_e32 v[166:167], s[10:11], v[170:171]
	v_fma_f64 v[4:5], v[6:7], s[20:21], v[4:5]
	v_fma_f64 v[10:11], v[8:9], s[20:21], v[10:11]
	;; [unrolled: 1-line block ×4, first 2 shown]
	v_add_f64_e32 v[12:13], v[42:43], v[196:197]
	v_fma_f64 v[190:191], v[184:185], s[12:13], v[158:159]
	v_fma_f64 v[174:175], v[6:7], s[20:21], v[172:173]
	v_fma_f64 v[172:173], v[18:19], s[14:15], -v[16:17]
	v_mul_f64_e32 v[18:19], s[22:23], v[176:177]
	v_fma_f64 v[22:23], v[22:23], s[24:25], -v[14:15]
	v_add_f64_e32 v[184:185], v[164:165], v[188:189]
	v_fma_f64 v[166:167], v[186:187], s[18:19], -v[166:167]
	v_add_f64_e64 v[16:17], v[30:31], -v[38:39]
	v_fma_f64 v[172:173], v[8:9], s[20:21], v[172:173]
	v_fma_f64 v[168:169], v[186:187], s[24:25], -v[18:19]
	v_add_f64_e32 v[22:23], v[22:23], v[188:189]
	v_add_f64_e32 v[8:9], v[28:29], v[36:37]
	;; [unrolled: 1-line block ×3, first 2 shown]
	v_add_f64_e64 v[164:165], v[184:185], -v[172:173]
	v_add_f64_e32 v[168:169], v[168:169], v[190:191]
	v_add_f64_e32 v[172:173], v[172:173], v[184:185]
	;; [unrolled: 1-line block ×3, first 2 shown]
	v_add_f64_e64 v[182:183], v[22:23], -v[10:11]
	v_fma_f64 v[10:11], v[170:171], s[10:11], v[18:19]
	v_add_f64_e32 v[166:167], v[174:175], v[192:193]
	v_add_f64_e64 v[174:175], v[192:193], -v[174:175]
	v_add_f64_e64 v[18:19], v[194:195], -v[24:25]
	;; [unrolled: 1-line block ×4, first 2 shown]
	v_add_f64_e32 v[184:185], v[4:5], v[168:169]
	v_fma_f64 v[4:5], v[20:21], s[10:11], v[14:15]
	v_add_f64_e64 v[20:21], v[32:33], -v[40:41]
	v_add_f64_e32 v[6:7], v[10:11], v[190:191]
	v_add_f64_e32 v[10:11], v[32:33], v[40:41]
	s_delay_alu instid0(VALU_DEP_4) | instskip(NEXT) | instid1(VALU_DEP_4)
	v_add_f64_e32 v[4:5], v[4:5], v[188:189]
	v_add_f64_e64 v[32:33], v[22:23], -v[20:21]
	s_delay_alu instid0(VALU_DEP_4)
	v_add_f64_e64 v[188:189], v[6:7], -v[0:1]
	v_add_f64_e32 v[192:193], v[0:1], v[6:7]
	v_add_f64_e32 v[0:1], v[26:27], v[34:35]
	;; [unrolled: 1-line block ×4, first 2 shown]
	v_add_f64_e64 v[190:191], v[4:5], -v[2:3]
	v_add_f64_e32 v[2:3], v[30:31], v[38:39]
	v_add_f64_e32 v[4:5], v[24:25], v[194:195]
	v_add_f64_e64 v[24:25], v[26:27], -v[34:35]
	v_add_f64_e32 v[14:15], v[12:13], v[14:15]
	v_add_f64_e64 v[26:27], v[28:29], -v[36:37]
	v_add_f64_e64 v[30:31], v[18:19], -v[16:17]
	ds_store_b128 v214, v[156:159]
	ds_store_b128 v214, v[186:189] offset:3872
	ds_store_b128 v214, v[176:179] offset:7744
	;; [unrolled: 1-line block ×6, first 2 shown]
	v_add_f64_e32 v[6:7], v[2:3], v[0:1]
	v_add_f64_e64 v[28:29], v[4:5], -v[2:3]
	v_add_f64_e32 v[170:171], v[162:163], v[14:15]
	s_delay_alu instid0(VALU_DEP_3)
	v_add_f64_e32 v[6:7], v[4:5], v[6:7]
	v_add_f64_e64 v[4:5], v[0:1], -v[4:5]
	v_add_f64_e64 v[0:1], v[2:3], -v[0:1]
	;; [unrolled: 1-line block ×5, first 2 shown]
	v_add_f64_e32 v[10:11], v[18:19], v[16:17]
	v_add_f64_e64 v[16:17], v[16:17], -v[24:25]
	v_add_f64_e64 v[18:19], v[24:25], -v[18:19]
	v_add_f64_e32 v[168:169], v[160:161], v[6:7]
	v_mul_f64_e32 v[4:5], s[22:23], v[4:5]
	v_mul_f64_e32 v[12:13], s[22:23], v[12:13]
	v_add_f64_e32 v[10:11], v[10:11], v[24:25]
	v_add_f64_e32 v[24:25], v[22:23], v[20:21]
	v_add_f64_e64 v[20:21], v[20:21], -v[26:27]
	v_add_f64_e64 v[22:23], v[26:27], -v[22:23]
	v_fma_f64 v[6:7], v[6:7], s[12:13], v[168:169]
	s_delay_alu instid0(VALU_DEP_4) | instskip(SKIP_2) | instid1(VALU_DEP_2)
	v_add_f64_e32 v[24:25], v[24:25], v[26:27]
	v_mul_f64_e32 v[26:27], s[16:17], v[30:31]
	v_mul_f64_e32 v[30:31], s[14:15], v[16:17]
	v_fma_f64 v[16:17], v[16:17], s[14:15], -v[26:27]
	v_fma_f64 v[26:27], v[18:19], s[26:27], v[26:27]
	s_delay_alu instid0(VALU_DEP_3)
	v_fma_f64 v[18:19], v[18:19], s[28:29], -v[30:31]
	v_mul_f64_e32 v[30:31], s[16:17], v[32:33]
	v_mul_f64_e32 v[32:33], s[14:15], v[20:21]
	v_fma_f64 v[192:193], v[10:11], s[20:21], v[16:17]
	v_fma_f64 v[174:175], v[10:11], s[20:21], v[26:27]
	v_fma_f64 v[188:189], v[10:11], s[20:21], v[18:19]
	v_fma_f64 v[20:21], v[20:21], s[14:15], -v[30:31]
	v_fma_f64 v[30:31], v[22:23], s[26:27], v[30:31]
	v_fma_f64 v[22:23], v[22:23], s[28:29], -v[32:33]
	v_mul_f64_e32 v[32:33], s[10:11], v[28:29]
	s_delay_alu instid0(VALU_DEP_4) | instskip(NEXT) | instid1(VALU_DEP_4)
	v_fma_f64 v[172:173], v[24:25], s[20:21], v[20:21]
	v_fma_f64 v[176:177], v[24:25], s[20:21], v[30:31]
	s_delay_alu instid0(VALU_DEP_4) | instskip(NEXT) | instid1(VALU_DEP_4)
	v_fma_f64 v[178:179], v[24:25], s[20:21], v[22:23]
	v_fma_f64 v[32:33], v[0:1], s[18:19], -v[32:33]
	v_fma_f64 v[0:1], v[0:1], s[24:25], -v[4:5]
	v_fma_f64 v[4:5], v[28:29], s[10:11], v[4:5]
	v_mul_f64_e32 v[28:29], s[10:11], v[2:3]
	v_fma_f64 v[2:3], v[2:3], s[10:11], v[12:13]
	v_add_f64_e32 v[182:183], v[32:33], v[6:7]
	v_add_f64_e32 v[184:185], v[0:1], v[6:7]
	v_fma_f64 v[0:1], v[14:15], s[12:13], v[170:171]
	v_fma_f64 v[28:29], v[8:9], s[18:19], -v[28:29]
	v_fma_f64 v[8:9], v[8:9], s[24:25], -v[12:13]
	v_add_f64_e32 v[186:187], v[4:5], v[6:7]
	v_add_f64_e32 v[164:165], v[172:173], v[182:183]
	;; [unrolled: 1-line block ×5, first 2 shown]
	v_add_f64_e64 v[0:1], v[184:185], -v[178:179]
	s_delay_alu instid0(VALU_DEP_3) | instskip(NEXT) | instid1(VALU_DEP_3)
	v_add_f64_e64 v[166:167], v[196:197], -v[192:193]
	v_add_f64_e32 v[2:3], v[188:189], v[194:195]
	scratch_store_b128 off, v[0:3], off     ; 16-byte Folded Spill
	v_add_f64_e64 v[0:1], v[186:187], -v[176:177]
	v_add_f64_e32 v[2:3], v[174:175], v[190:191]
	scratch_store_b128 off, v[0:3], off offset:16 ; 16-byte Folded Spill
	s_and_saveexec_b32 s1, s0
	s_cbranch_execz .LBB0_9
; %bb.8:
	scratch_load_b128 v[0:3], off, off      ; 16-byte Folded Reload
	v_add_f64_e32 v[192:193], v[192:193], v[196:197]
	v_add_f64_e64 v[188:189], v[194:195], -v[188:189]
	v_add_f64_e64 v[196:197], v[190:191], -v[174:175]
	v_add_f64_e32 v[194:195], v[176:177], v[186:187]
	v_add_f64_e32 v[186:187], v[178:179], v[184:185]
	v_add_f64_e64 v[190:191], v[182:183], -v[172:173]
	ds_store_b128 v214, v[164:167] offset:17952
	s_wait_loadcnt 0x0
	ds_store_b128 v214, v[0:3] offset:21824
	ds_store_b128 v214, v[168:171] offset:2464
	;; [unrolled: 1-line block ×5, first 2 shown]
	scratch_load_b128 v[0:3], off, off offset:16 ; 16-byte Folded Reload
	s_wait_loadcnt 0x0
	ds_store_b128 v214, v[0:3] offset:25696
.LBB0_9:
	s_wait_alu 0xfffe
	s_or_b32 exec_lo, exec_lo, s1
	global_wb scope:SCOPE_SE
	s_wait_storecnt_dscnt 0x0
	s_barrier_signal -1
	s_barrier_wait -1
	global_inv scope:SCOPE_SE
	global_load_b128 v[168:171], v[180:181], off offset:27104
	s_add_nc_u64 s[8:9], s[8:9], 0x69e0
	s_clause 0x4
	global_load_b128 v[172:175], v214, s[8:9] offset:2464
	global_load_b128 v[176:179], v214, s[8:9] offset:4928
	;; [unrolled: 1-line block ×5, first 2 shown]
	ds_load_b128 v[192:195], v214
	ds_load_b128 v[199:202], v214 offset:2464
	ds_load_b128 v[203:206], v214 offset:24640
	s_mov_b32 s20, 0xf8bb580b
	s_mov_b32 s38, 0x8eee2c13
	;; [unrolled: 1-line block ×23, first 2 shown]
	s_wait_alu 0xfffe
	s_mov_b32 s30, s20
	s_mov_b32 s28, s38
	;; [unrolled: 1-line block ×5, first 2 shown]
	s_wait_loadcnt_dscnt 0x502
	v_mul_f64_e32 v[0:1], v[194:195], v[170:171]
	v_mul_f64_e32 v[2:3], v[192:193], v[170:171]
	s_delay_alu instid0(VALU_DEP_2) | instskip(NEXT) | instid1(VALU_DEP_2)
	v_fma_f64 v[192:193], v[192:193], v[168:169], -v[0:1]
	v_fma_f64 v[194:195], v[194:195], v[168:169], v[2:3]
	s_wait_loadcnt_dscnt 0x401
	v_mul_f64_e32 v[0:1], v[201:202], v[174:175]
	v_mul_f64_e32 v[2:3], v[199:200], v[174:175]
	ds_load_b128 v[168:171], v214 offset:4928
	v_fma_f64 v[199:200], v[199:200], v[172:173], -v[0:1]
	v_fma_f64 v[201:202], v[201:202], v[172:173], v[2:3]
	ds_load_b128 v[172:175], v214 offset:7392
	s_wait_loadcnt_dscnt 0x301
	v_mul_f64_e32 v[0:1], v[170:171], v[178:179]
	v_mul_f64_e32 v[2:3], v[168:169], v[178:179]
	s_delay_alu instid0(VALU_DEP_2) | instskip(NEXT) | instid1(VALU_DEP_2)
	v_fma_f64 v[168:169], v[168:169], v[176:177], -v[0:1]
	v_fma_f64 v[170:171], v[170:171], v[176:177], v[2:3]
	s_wait_loadcnt_dscnt 0x200
	v_mul_f64_e32 v[0:1], v[174:175], v[182:183]
	v_mul_f64_e32 v[2:3], v[172:173], v[182:183]
	ds_load_b128 v[176:179], v214 offset:9856
	v_fma_f64 v[172:173], v[172:173], v[180:181], -v[0:1]
	v_fma_f64 v[174:175], v[174:175], v[180:181], v[2:3]
	ds_load_b128 v[180:183], v214 offset:12320
	s_wait_loadcnt_dscnt 0x101
	v_mul_f64_e32 v[0:1], v[178:179], v[186:187]
	v_mul_f64_e32 v[2:3], v[176:177], v[186:187]
	s_delay_alu instid0(VALU_DEP_2) | instskip(NEXT) | instid1(VALU_DEP_2)
	v_fma_f64 v[176:177], v[176:177], v[184:185], -v[0:1]
	v_fma_f64 v[178:179], v[178:179], v[184:185], v[2:3]
	s_wait_loadcnt_dscnt 0x0
	v_mul_f64_e32 v[0:1], v[182:183], v[190:191]
	global_load_b128 v[184:187], v214, s[8:9] offset:14784
	v_mul_f64_e32 v[2:3], v[180:181], v[190:191]
	v_fma_f64 v[180:181], v[180:181], v[188:189], -v[0:1]
	s_delay_alu instid0(VALU_DEP_2)
	v_fma_f64 v[182:183], v[182:183], v[188:189], v[2:3]
	global_load_b128 v[188:191], v214, s[8:9] offset:17248
	ds_load_b128 v[207:210], v214 offset:14784
	ds_load_b128 v[223:226], v214 offset:17248
	s_wait_loadcnt_dscnt 0x101
	v_mul_f64_e32 v[0:1], v[209:210], v[186:187]
	v_mul_f64_e32 v[2:3], v[207:208], v[186:187]
	s_delay_alu instid0(VALU_DEP_2) | instskip(NEXT) | instid1(VALU_DEP_2)
	v_fma_f64 v[207:208], v[207:208], v[184:185], -v[0:1]
	v_fma_f64 v[209:210], v[209:210], v[184:185], v[2:3]
	s_wait_loadcnt_dscnt 0x0
	v_mul_f64_e32 v[0:1], v[225:226], v[190:191]
	v_mul_f64_e32 v[2:3], v[223:224], v[190:191]
	s_delay_alu instid0(VALU_DEP_2) | instskip(NEXT) | instid1(VALU_DEP_2)
	v_fma_f64 v[184:185], v[223:224], v[188:189], -v[0:1]
	v_fma_f64 v[186:187], v[225:226], v[188:189], v[2:3]
	s_clause 0x1
	global_load_b128 v[188:191], v214, s[8:9] offset:19712
	global_load_b128 v[223:226], v214, s[8:9] offset:22176
	ds_load_b128 v[227:230], v214 offset:19712
	ds_load_b128 v[231:234], v214 offset:22176
	s_wait_loadcnt_dscnt 0x101
	v_mul_f64_e32 v[0:1], v[229:230], v[190:191]
	v_mul_f64_e32 v[2:3], v[227:228], v[190:191]
	s_delay_alu instid0(VALU_DEP_2) | instskip(NEXT) | instid1(VALU_DEP_2)
	v_fma_f64 v[227:228], v[227:228], v[188:189], -v[0:1]
	v_fma_f64 v[229:230], v[229:230], v[188:189], v[2:3]
	s_wait_loadcnt_dscnt 0x0
	v_mul_f64_e32 v[0:1], v[233:234], v[225:226]
	v_mul_f64_e32 v[2:3], v[231:232], v[225:226]
	s_delay_alu instid0(VALU_DEP_2) | instskip(NEXT) | instid1(VALU_DEP_2)
	v_fma_f64 v[188:189], v[231:232], v[223:224], -v[0:1]
	v_fma_f64 v[190:191], v[233:234], v[223:224], v[2:3]
	global_load_b128 v[223:226], v214, s[8:9] offset:24640
	s_mov_b32 s8, 0x9bcd5057
	s_mov_b32 s9, 0xbfeeb42a
	s_wait_loadcnt 0x0
	v_mul_f64_e32 v[0:1], v[205:206], v[225:226]
	v_mul_f64_e32 v[2:3], v[203:204], v[225:226]
	s_delay_alu instid0(VALU_DEP_2) | instskip(NEXT) | instid1(VALU_DEP_2)
	v_fma_f64 v[203:204], v[203:204], v[223:224], -v[0:1]
	v_fma_f64 v[205:206], v[205:206], v[223:224], v[2:3]
	ds_store_b128 v214, v[192:195]
	ds_store_b128 v214, v[199:202] offset:2464
	ds_store_b128 v214, v[168:171] offset:4928
	;; [unrolled: 1-line block ×10, first 2 shown]
	global_wb scope:SCOPE_SE
	s_wait_dscnt 0x0
	s_barrier_signal -1
	s_barrier_wait -1
	global_inv scope:SCOPE_SE
	ds_load_b128 v[168:171], v214
	ds_load_b128 v[172:175], v214 offset:2464
	ds_load_b128 v[176:179], v214 offset:4928
	;; [unrolled: 1-line block ×7, first 2 shown]
	s_wait_dscnt 0x6
	v_add_f64_e32 v[0:1], v[168:169], v[172:173]
	v_add_f64_e32 v[2:3], v[170:171], v[174:175]
	s_wait_dscnt 0x1
	v_add_f64_e32 v[4:5], v[188:189], v[192:193]
	v_add_f64_e32 v[6:7], v[190:191], v[194:195]
	v_add_f64_e64 v[8:9], v[188:189], -v[192:193]
	v_add_f64_e64 v[10:11], v[190:191], -v[194:195]
	s_wait_dscnt 0x0
	v_add_f64_e32 v[12:13], v[184:185], v[199:200]
	v_add_f64_e32 v[14:15], v[186:187], v[201:202]
	v_add_f64_e64 v[16:17], v[186:187], -v[201:202]
	v_add_f64_e64 v[18:19], v[184:185], -v[199:200]
	v_add_f64_e32 v[0:1], v[0:1], v[176:177]
	v_add_f64_e32 v[2:3], v[2:3], v[178:179]
	v_mul_f64_e32 v[243:244], s[16:17], v[6:7]
	v_mul_f64_e32 v[229:230], s[34:35], v[10:11]
	s_wait_alu 0xfffe
	v_mul_f64_e32 v[241:242], s[30:31], v[10:11]
	v_mul_f64_e32 v[227:228], s[10:11], v[14:15]
	;; [unrolled: 1-line block ×12, first 2 shown]
	v_add_f64_e32 v[0:1], v[0:1], v[180:181]
	v_add_f64_e32 v[2:3], v[2:3], v[182:183]
	v_fma_f64 v[162:163], v[4:5], s[10:11], v[160:161]
	v_fma_f64 v[158:159], v[18:19], s[30:31], v[156:157]
	;; [unrolled: 1-line block ×4, first 2 shown]
	v_add_f64_e32 v[0:1], v[0:1], v[184:185]
	v_add_f64_e32 v[2:3], v[2:3], v[186:187]
	s_delay_alu instid0(VALU_DEP_2) | instskip(NEXT) | instid1(VALU_DEP_2)
	v_add_f64_e32 v[0:1], v[0:1], v[188:189]
	v_add_f64_e32 v[2:3], v[2:3], v[190:191]
	ds_load_b128 v[184:187], v214 offset:19712
	ds_load_b128 v[188:191], v214 offset:22176
	s_wait_dscnt 0x1
	v_add_f64_e64 v[20:21], v[182:183], -v[186:187]
	s_wait_dscnt 0x0
	v_add_f64_e64 v[28:29], v[178:179], -v[190:191]
	v_add_f64_e32 v[30:31], v[178:179], v[190:191]
	v_add_f64_e32 v[32:33], v[176:177], v[188:189]
	v_add_f64_e64 v[34:35], v[176:177], -v[188:189]
	ds_load_b128 v[176:179], v214 offset:24640
	v_add_f64_e32 v[22:23], v[182:183], v[186:187]
	v_add_f64_e32 v[24:25], v[180:181], v[184:185]
	v_add_f64_e64 v[26:27], v[180:181], -v[184:185]
	global_wb scope:SCOPE_SE
	s_wait_dscnt 0x0
	s_barrier_signal -1
	s_barrier_wait -1
	global_inv scope:SCOPE_SE
	v_add_f64_e32 v[0:1], v[0:1], v[192:193]
	v_add_f64_e32 v[2:3], v[2:3], v[194:195]
	v_add_f64_e64 v[36:37], v[174:175], -v[178:179]
	v_add_f64_e32 v[38:39], v[174:175], v[178:179]
	v_add_f64_e32 v[40:41], v[172:173], v[176:177]
	v_add_f64_e64 v[42:43], v[172:173], -v[176:177]
	v_mul_f64_e32 v[219:220], s[36:37], v[20:21]
	v_mul_f64_e32 v[215:216], s[38:39], v[28:29]
	;; [unrolled: 1-line block ×13, first 2 shown]
	v_add_f64_e32 v[0:1], v[0:1], v[199:200]
	v_add_f64_e32 v[2:3], v[2:3], v[201:202]
	v_mul_f64_e32 v[192:193], s[10:11], v[38:39]
	v_mul_f64_e32 v[194:195], s[8:9], v[38:39]
	v_fma_f64 v[86:87], v[26:27], s[30:31], v[84:85]
	v_add_f64_e32 v[0:1], v[0:1], v[184:185]
	v_add_f64_e32 v[2:3], v[2:3], v[186:187]
	v_fma_f64 v[201:202], v[42:43], s[24:25], v[192:193]
	v_fma_f64 v[192:193], v[42:43], s[18:19], v[192:193]
	;; [unrolled: 1-line block ×4, first 2 shown]
	v_add_f64_e32 v[0:1], v[0:1], v[188:189]
	v_add_f64_e32 v[2:3], v[2:3], v[190:191]
	v_mul_f64_e32 v[190:191], s[12:13], v[38:39]
	v_add_f64_e32 v[201:202], v[170:171], v[201:202]
	v_add_f64_e32 v[209:210], v[170:171], v[192:193]
	;; [unrolled: 1-line block ×6, first 2 shown]
	v_mul_f64_e32 v[0:1], s[20:21], v[36:37]
	v_mul_f64_e32 v[2:3], s[38:39], v[36:37]
	;; [unrolled: 1-line block ×5, first 2 shown]
	v_fma_f64 v[199:200], v[42:43], s[26:27], v[190:191]
	v_fma_f64 v[190:191], v[42:43], s[36:37], v[190:191]
	;; [unrolled: 1-line block ×3, first 2 shown]
	v_fma_f64 v[0:1], v[40:41], s[16:17], -v[0:1]
	v_fma_f64 v[182:183], v[40:41], s[14:15], v[2:3]
	v_fma_f64 v[2:3], v[40:41], s[14:15], -v[2:3]
	v_fma_f64 v[184:185], v[40:41], s[12:13], v[176:177]
	;; [unrolled: 2-line block ×4, first 2 shown]
	v_fma_f64 v[36:37], v[40:41], s[8:9], -v[36:37]
	v_mul_f64_e32 v[40:41], s[14:15], v[38:39]
	v_mul_f64_e32 v[38:39], s[16:17], v[38:39]
	v_add_f64_e32 v[199:200], v[170:171], v[199:200]
	v_add_f64_e32 v[211:212], v[170:171], v[190:191]
	;; [unrolled: 1-line block ×10, first 2 shown]
	v_fma_f64 v[196:197], v[42:43], s[28:29], v[40:41]
	v_fma_f64 v[205:206], v[42:43], s[20:21], v[38:39]
	;; [unrolled: 1-line block ×4, first 2 shown]
	v_add_f64_e32 v[42:43], v[168:169], v[180:181]
	v_fma_f64 v[178:179], v[34:35], s[24:25], v[233:234]
	v_add_f64_e32 v[196:197], v[170:171], v[196:197]
	v_add_f64_e32 v[180:181], v[170:171], v[205:206]
	;; [unrolled: 1-line block ×3, first 2 shown]
	v_fma_f64 v[168:169], v[32:33], s[14:15], -v[215:216]
	v_add_f64_e32 v[40:41], v[170:171], v[40:41]
	v_add_f64_e32 v[38:39], v[170:171], v[38:39]
	v_fma_f64 v[170:171], v[24:25], s[12:13], -v[219:220]
	v_add_f64_e32 v[178:179], v[178:179], v[196:197]
	v_mul_f64_e32 v[196:197], s[22:23], v[20:21]
	v_add_f64_e32 v[0:1], v[168:169], v[0:1]
	v_fma_f64 v[168:169], v[34:35], s[38:39], v[217:218]
	s_delay_alu instid0(VALU_DEP_2) | instskip(NEXT) | instid1(VALU_DEP_2)
	v_add_f64_e32 v[0:1], v[170:171], v[0:1]
	v_add_f64_e32 v[168:169], v[168:169], v[180:181]
	v_fma_f64 v[170:171], v[26:27], s[36:37], v[223:224]
	v_fma_f64 v[180:181], v[24:25], s[8:9], v[196:197]
	s_delay_alu instid0(VALU_DEP_2) | instskip(SKIP_1) | instid1(VALU_DEP_1)
	v_add_f64_e32 v[168:169], v[170:171], v[168:169]
	v_fma_f64 v[170:171], v[12:13], s[10:11], -v[225:226]
	v_add_f64_e32 v[0:1], v[170:171], v[0:1]
	v_fma_f64 v[170:171], v[18:19], s[18:19], v[227:228]
	s_delay_alu instid0(VALU_DEP_1) | instskip(SKIP_1) | instid1(VALU_DEP_1)
	v_add_f64_e32 v[170:171], v[170:171], v[168:169]
	v_fma_f64 v[168:169], v[4:5], s[8:9], -v[229:230]
	v_add_f64_e32 v[168:169], v[168:169], v[0:1]
	v_mul_f64_e32 v[0:1], s[8:9], v[6:7]
	s_delay_alu instid0(VALU_DEP_1) | instskip(SKIP_1) | instid1(VALU_DEP_2)
	v_fma_f64 v[176:177], v[8:9], s[34:35], v[0:1]
	v_fma_f64 v[0:1], v[8:9], s[22:23], v[0:1]
	v_add_f64_e32 v[170:171], v[176:177], v[170:171]
	v_fma_f64 v[176:177], v[32:33], s[10:11], v[231:232]
	s_delay_alu instid0(VALU_DEP_1) | instskip(SKIP_1) | instid1(VALU_DEP_2)
	v_add_f64_e32 v[176:177], v[176:177], v[182:183]
	v_fma_f64 v[182:183], v[34:35], s[34:35], v[247:248]
	v_add_f64_e32 v[176:177], v[180:181], v[176:177]
	v_fma_f64 v[180:181], v[26:27], s[34:35], v[235:236]
	s_delay_alu instid0(VALU_DEP_3) | instskip(SKIP_2) | instid1(VALU_DEP_4)
	v_add_f64_e32 v[182:183], v[182:183], v[199:200]
	v_mul_f64_e32 v[199:200], s[12:13], v[30:31]
	v_mul_f64_e32 v[30:31], s[16:17], v[30:31]
	v_add_f64_e32 v[178:179], v[180:181], v[178:179]
	v_fma_f64 v[180:181], v[12:13], s[12:13], v[237:238]
	s_delay_alu instid0(VALU_DEP_1) | instskip(SKIP_1) | instid1(VALU_DEP_1)
	v_add_f64_e32 v[176:177], v[180:181], v[176:177]
	v_fma_f64 v[180:181], v[18:19], s[36:37], v[239:240]
	v_add_f64_e32 v[178:179], v[180:181], v[178:179]
	v_fma_f64 v[180:181], v[4:5], s[16:17], v[241:242]
	s_delay_alu instid0(VALU_DEP_1) | instskip(SKIP_1) | instid1(VALU_DEP_1)
	v_add_f64_e32 v[176:177], v[180:181], v[176:177]
	v_fma_f64 v[180:181], v[8:9], s[20:21], v[243:244]
	;; [unrolled: 5-line block ×3, first 2 shown]
	v_add_f64_e32 v[180:181], v[184:185], v[180:181]
	v_fma_f64 v[184:185], v[26:27], s[38:39], v[251:252]
	s_delay_alu instid0(VALU_DEP_1) | instskip(SKIP_1) | instid1(VALU_DEP_2)
	v_add_f64_e32 v[182:183], v[184:185], v[182:183]
	v_fma_f64 v[184:185], v[12:13], s[16:17], v[253:254]
	v_add_f64_e32 v[158:159], v[158:159], v[182:183]
	s_delay_alu instid0(VALU_DEP_2) | instskip(NEXT) | instid1(VALU_DEP_1)
	v_add_f64_e32 v[180:181], v[184:185], v[180:181]
	v_add_f64_e32 v[180:181], v[162:163], v[180:181]
	v_mul_f64_e32 v[162:163], s[10:11], v[6:7]
	s_delay_alu instid0(VALU_DEP_1) | instskip(NEXT) | instid1(VALU_DEP_1)
	v_fma_f64 v[182:183], v[8:9], s[24:25], v[162:163]
	v_add_f64_e32 v[182:183], v[182:183], v[158:159]
	v_mul_f64_e32 v[158:159], s[26:27], v[28:29]
	v_mul_f64_e32 v[28:29], s[30:31], v[28:29]
	s_delay_alu instid0(VALU_DEP_2) | instskip(NEXT) | instid1(VALU_DEP_1)
	v_fma_f64 v[184:185], v[32:33], s[12:13], v[158:159]
	v_add_f64_e32 v[184:185], v[184:185], v[186:187]
	v_fma_f64 v[186:187], v[34:35], s[36:37], v[199:200]
	s_delay_alu instid0(VALU_DEP_1) | instskip(SKIP_2) | instid1(VALU_DEP_3)
	v_add_f64_e32 v[186:187], v[186:187], v[201:202]
	v_mul_f64_e32 v[201:202], s[20:21], v[20:21]
	v_mul_f64_e32 v[20:21], s[18:19], v[20:21]
	v_add_f64_e32 v[86:87], v[86:87], v[186:187]
	s_delay_alu instid0(VALU_DEP_3) | instskip(NEXT) | instid1(VALU_DEP_2)
	v_fma_f64 v[190:191], v[24:25], s[16:17], v[201:202]
	v_add_f64_e32 v[86:87], v[94:95], v[86:87]
	s_delay_alu instid0(VALU_DEP_2)
	v_add_f64_e32 v[184:185], v[190:191], v[184:185]
	v_mul_f64_e32 v[94:95], s[28:29], v[10:11]
	v_fma_f64 v[190:191], v[24:25], s[10:11], v[20:21]
	v_mul_f64_e32 v[10:11], s[36:37], v[10:11]
	v_fma_f64 v[20:21], v[24:25], s[10:11], -v[20:21]
	v_add_f64_e32 v[90:91], v[90:91], v[184:185]
	v_fma_f64 v[184:185], v[4:5], s[14:15], v[94:95]
	s_delay_alu instid0(VALU_DEP_1) | instskip(SKIP_2) | instid1(VALU_DEP_2)
	v_add_f64_e32 v[184:185], v[184:185], v[90:91]
	v_mul_f64_e32 v[90:91], s[14:15], v[6:7]
	v_mul_f64_e32 v[6:7], s[12:13], v[6:7]
	v_fma_f64 v[186:187], v[8:9], s[38:39], v[90:91]
	s_delay_alu instid0(VALU_DEP_1) | instskip(SKIP_2) | instid1(VALU_DEP_2)
	v_add_f64_e32 v[186:187], v[186:187], v[86:87]
	v_fma_f64 v[86:87], v[32:33], s[16:17], v[28:29]
	v_fma_f64 v[28:29], v[32:33], s[16:17], -v[28:29]
	v_add_f64_e32 v[86:87], v[86:87], v[188:189]
	v_fma_f64 v[188:189], v[34:35], s[20:21], v[30:31]
	v_fma_f64 v[30:31], v[34:35], s[30:31], v[30:31]
	s_delay_alu instid0(VALU_DEP_4) | instskip(NEXT) | instid1(VALU_DEP_4)
	v_add_f64_e32 v[28:29], v[28:29], v[36:37]
	v_add_f64_e32 v[86:87], v[190:191], v[86:87]
	s_delay_alu instid0(VALU_DEP_4) | instskip(SKIP_4) | instid1(VALU_DEP_4)
	v_add_f64_e32 v[188:189], v[188:189], v[203:204]
	v_fma_f64 v[190:191], v[26:27], s[24:25], v[22:23]
	v_add_f64_e32 v[30:31], v[30:31], v[194:195]
	v_fma_f64 v[22:23], v[26:27], s[18:19], v[22:23]
	v_add_f64_e32 v[20:21], v[20:21], v[28:29]
	v_add_f64_e32 v[188:189], v[190:191], v[188:189]
	v_fma_f64 v[190:191], v[12:13], s[14:15], v[16:17]
	s_delay_alu instid0(VALU_DEP_4) | instskip(SKIP_1) | instid1(VALU_DEP_3)
	v_add_f64_e32 v[22:23], v[22:23], v[30:31]
	v_fma_f64 v[16:17], v[12:13], s[14:15], -v[16:17]
	v_add_f64_e32 v[86:87], v[190:191], v[86:87]
	v_fma_f64 v[190:191], v[18:19], s[38:39], v[14:15]
	v_fma_f64 v[14:15], v[18:19], s[28:29], v[14:15]
	s_delay_alu instid0(VALU_DEP_4) | instskip(NEXT) | instid1(VALU_DEP_3)
	v_add_f64_e32 v[16:17], v[16:17], v[20:21]
	v_add_f64_e32 v[190:191], v[190:191], v[188:189]
	v_fma_f64 v[188:189], v[4:5], s[12:13], v[10:11]
	s_delay_alu instid0(VALU_DEP_4) | instskip(SKIP_1) | instid1(VALU_DEP_3)
	v_add_f64_e32 v[14:15], v[14:15], v[22:23]
	v_fma_f64 v[10:11], v[4:5], s[12:13], -v[10:11]
	v_add_f64_e32 v[188:189], v[188:189], v[86:87]
	v_fma_f64 v[86:87], v[8:9], s[26:27], v[6:7]
	v_fma_f64 v[6:7], v[8:9], s[36:37], v[6:7]
	s_delay_alu instid0(VALU_DEP_4)
	v_add_f64_e32 v[192:193], v[10:11], v[16:17]
	v_fma_f64 v[10:11], v[34:35], s[26:27], v[199:200]
	v_fma_f64 v[16:17], v[8:9], s[28:29], v[90:91]
	v_add_f64_e32 v[190:191], v[86:87], v[190:191]
	v_add_f64_e32 v[194:195], v[6:7], v[14:15]
	v_fma_f64 v[6:7], v[32:33], s[12:13], -v[158:159]
	v_fma_f64 v[14:15], v[24:25], s[16:17], -v[201:202]
	v_add_f64_e32 v[10:11], v[10:11], v[209:210]
	s_delay_alu instid0(VALU_DEP_3) | instskip(NEXT) | instid1(VALU_DEP_1)
	v_add_f64_e32 v[6:7], v[6:7], v[207:208]
	v_add_f64_e32 v[6:7], v[14:15], v[6:7]
	v_fma_f64 v[14:15], v[26:27], s[20:21], v[84:85]
	s_delay_alu instid0(VALU_DEP_1) | instskip(SKIP_1) | instid1(VALU_DEP_1)
	v_add_f64_e32 v[10:11], v[14:15], v[10:11]
	v_fma_f64 v[14:15], v[12:13], s[8:9], -v[88:89]
	v_add_f64_e32 v[6:7], v[14:15], v[6:7]
	v_fma_f64 v[14:15], v[18:19], s[34:35], v[92:93]
	s_delay_alu instid0(VALU_DEP_1) | instskip(SKIP_1) | instid1(VALU_DEP_2)
	v_add_f64_e32 v[10:11], v[14:15], v[10:11]
	v_fma_f64 v[14:15], v[4:5], s[14:15], -v[94:95]
	v_add_f64_e32 v[201:202], v[16:17], v[10:11]
	s_delay_alu instid0(VALU_DEP_2) | instskip(SKIP_4) | instid1(VALU_DEP_4)
	v_add_f64_e32 v[199:200], v[14:15], v[6:7]
	v_fma_f64 v[6:7], v[32:33], s[8:9], -v[245:246]
	v_fma_f64 v[10:11], v[34:35], s[22:23], v[247:248]
	v_fma_f64 v[14:15], v[24:25], s[14:15], -v[249:250]
	v_fma_f64 v[16:17], v[8:9], s[18:19], v[162:163]
	v_add_f64_e32 v[6:7], v[6:7], v[205:206]
	s_delay_alu instid0(VALU_DEP_4) | instskip(NEXT) | instid1(VALU_DEP_2)
	v_add_f64_e32 v[10:11], v[10:11], v[211:212]
	v_add_f64_e32 v[6:7], v[14:15], v[6:7]
	v_fma_f64 v[14:15], v[26:27], s[28:29], v[251:252]
	s_delay_alu instid0(VALU_DEP_1) | instskip(SKIP_1) | instid1(VALU_DEP_1)
	v_add_f64_e32 v[10:11], v[14:15], v[10:11]
	v_fma_f64 v[14:15], v[12:13], s[16:17], -v[253:254]
	v_add_f64_e32 v[6:7], v[14:15], v[6:7]
	v_fma_f64 v[14:15], v[18:19], s[20:21], v[156:157]
	s_delay_alu instid0(VALU_DEP_1) | instskip(SKIP_1) | instid1(VALU_DEP_2)
	v_add_f64_e32 v[10:11], v[14:15], v[10:11]
	v_fma_f64 v[14:15], v[4:5], s[10:11], -v[160:161]
	v_add_f64_e32 v[205:206], v[16:17], v[10:11]
	s_delay_alu instid0(VALU_DEP_2) | instskip(SKIP_4) | instid1(VALU_DEP_4)
	v_add_f64_e32 v[203:204], v[14:15], v[6:7]
	v_fma_f64 v[6:7], v[32:33], s[10:11], -v[231:232]
	v_fma_f64 v[10:11], v[24:25], s[8:9], -v[196:197]
	v_fma_f64 v[14:15], v[8:9], s[30:31], v[243:244]
	v_fma_f64 v[16:17], v[18:19], s[24:25], v[227:228]
	v_add_f64_e32 v[2:3], v[6:7], v[2:3]
	v_fma_f64 v[6:7], v[34:35], s[18:19], v[233:234]
	s_delay_alu instid0(VALU_DEP_2) | instskip(NEXT) | instid1(VALU_DEP_2)
	v_add_f64_e32 v[2:3], v[10:11], v[2:3]
	v_add_f64_e32 v[6:7], v[6:7], v[40:41]
	v_fma_f64 v[10:11], v[26:27], s[22:23], v[235:236]
	s_delay_alu instid0(VALU_DEP_1) | instskip(SKIP_2) | instid1(VALU_DEP_2)
	v_add_f64_e32 v[6:7], v[10:11], v[6:7]
	v_fma_f64 v[10:11], v[12:13], s[12:13], -v[237:238]
	v_fma_f64 v[12:13], v[12:13], s[10:11], v[225:226]
	v_add_f64_e32 v[2:3], v[10:11], v[2:3]
	v_fma_f64 v[10:11], v[18:19], s[26:27], v[239:240]
	s_delay_alu instid0(VALU_DEP_1) | instskip(SKIP_2) | instid1(VALU_DEP_3)
	v_add_f64_e32 v[6:7], v[10:11], v[6:7]
	v_fma_f64 v[10:11], v[4:5], s[16:17], -v[241:242]
	v_fma_f64 v[4:5], v[4:5], s[8:9], v[229:230]
	v_add_f64_e32 v[209:210], v[14:15], v[6:7]
	s_delay_alu instid0(VALU_DEP_3) | instskip(SKIP_4) | instid1(VALU_DEP_4)
	v_add_f64_e32 v[207:208], v[10:11], v[2:3]
	v_fma_f64 v[2:3], v[32:33], s[14:15], v[215:216]
	v_fma_f64 v[6:7], v[34:35], s[28:29], v[217:218]
	;; [unrolled: 1-line block ×4, first 2 shown]
	v_add_f64_e32 v[2:3], v[2:3], v[42:43]
	s_delay_alu instid0(VALU_DEP_4) | instskip(NEXT) | instid1(VALU_DEP_2)
	v_add_f64_e32 v[6:7], v[6:7], v[38:39]
	v_add_f64_e32 v[2:3], v[10:11], v[2:3]
	s_delay_alu instid0(VALU_DEP_2) | instskip(NEXT) | instid1(VALU_DEP_2)
	v_add_f64_e32 v[6:7], v[14:15], v[6:7]
	v_add_f64_e32 v[2:3], v[12:13], v[2:3]
	s_delay_alu instid0(VALU_DEP_2) | instskip(NEXT) | instid1(VALU_DEP_2)
	v_add_f64_e32 v[6:7], v[16:17], v[6:7]
	v_add_f64_e32 v[223:224], v[4:5], v[2:3]
	s_delay_alu instid0(VALU_DEP_2)
	v_add_f64_e32 v[225:226], v[0:1], v[6:7]
	ds_store_b128 v198, v[176:179] offset:32
	ds_store_b128 v198, v[180:183] offset:48
	;; [unrolled: 1-line block ×10, first 2 shown]
	ds_store_b128 v198, v[172:175]
	global_wb scope:SCOPE_SE
	s_wait_dscnt 0x0
	s_barrier_signal -1
	s_barrier_wait -1
	global_inv scope:SCOPE_SE
	ds_load_b128 v[176:179], v214
	ds_load_b128 v[180:183], v214 offset:2464
	ds_load_b128 v[192:195], v214 offset:16016
	;; [unrolled: 1-line block ×9, first 2 shown]
	s_and_saveexec_b32 s1, vcc_lo
	s_cbranch_execz .LBB0_11
; %bb.10:
	ds_load_b128 v[168:171], v214 offset:12320
	ds_load_b128 v[164:167], v214 offset:25872
.LBB0_11:
	s_wait_alu 0xfffe
	s_or_b32 exec_lo, exec_lo, s1
	s_wait_dscnt 0x3
	v_mul_f64_e32 v[0:1], v[70:71], v[210:211]
	v_mul_f64_e32 v[2:3], v[70:71], v[208:209]
	s_wait_dscnt 0x1
	v_mul_f64_e32 v[12:13], v[66:67], v[206:207]
	v_mul_f64_e32 v[14:15], v[66:67], v[204:205]
	;; [unrolled: 3-line block ×3, first 2 shown]
	global_wb scope:SCOPE_SE
	s_barrier_signal -1
	s_barrier_wait -1
	global_inv scope:SCOPE_SE
	v_mul_f64_e32 v[4:5], v[74:75], v[194:195]
	v_mul_f64_e32 v[6:7], v[74:75], v[192:193]
	;; [unrolled: 1-line block ×6, first 2 shown]
	v_fma_f64 v[0:1], v[68:69], v[208:209], v[0:1]
	v_fma_f64 v[2:3], v[68:69], v[210:211], -v[2:3]
	v_fma_f64 v[12:13], v[64:65], v[204:205], v[12:13]
	v_fma_f64 v[14:15], v[64:65], v[206:207], -v[14:15]
	;; [unrolled: 2-line block ×5, first 2 shown]
	v_add_f64_e64 v[64:65], v[176:177], -v[0:1]
	v_fma_f64 v[0:1], v[60:61], v[164:165], v[20:21]
	v_add_f64_e64 v[66:67], v[178:179], -v[2:3]
	v_fma_f64 v[2:3], v[60:61], v[166:167], -v[22:23]
	v_add_f64_e64 v[76:77], v[184:185], -v[12:13]
	v_add_f64_e64 v[78:79], v[186:187], -v[14:15]
	;; [unrolled: 1-line block ×8, first 2 shown]
	v_fma_f64 v[164:165], v[176:177], 2.0, -v[64:65]
	v_add_f64_e64 v[60:61], v[168:169], -v[0:1]
	scratch_load_b32 v0, off, off offset:236 th:TH_LOAD_LU ; 4-byte Folded Reload
	v_fma_f64 v[166:167], v[178:179], 2.0, -v[66:67]
	v_fma_f64 v[184:185], v[184:185], 2.0, -v[76:77]
	;; [unrolled: 1-line block ×3, first 2 shown]
	v_add_f64_e64 v[62:63], v[170:171], -v[2:3]
	s_wait_loadcnt 0x0
	ds_store_b128 v0, v[164:167]
	ds_store_b128 v0, v[64:67] offset:176
	scratch_load_b32 v0, off, off offset:232 th:TH_LOAD_LU ; 4-byte Folded Reload
	v_fma_f64 v[176:177], v[180:181], 2.0, -v[68:69]
	v_fma_f64 v[178:179], v[182:183], 2.0, -v[70:71]
	;; [unrolled: 1-line block ×6, first 2 shown]
	s_wait_loadcnt 0x0
	ds_store_b128 v0, v[176:179]
	ds_store_b128 v0, v[68:71] offset:176
	scratch_load_b32 v0, off, off offset:228 th:TH_LOAD_LU ; 4-byte Folded Reload
	s_wait_loadcnt 0x0
	ds_store_b128 v0, v[180:183]
	ds_store_b128 v0, v[72:75] offset:176
	scratch_load_b32 v0, off, off offset:224 th:TH_LOAD_LU ; 4-byte Folded Reload
	;; [unrolled: 4-line block ×3, first 2 shown]
	s_wait_loadcnt 0x0
	ds_store_b128 v0, v[172:175]
	ds_store_b128 v0, v[80:83] offset:176
	s_and_saveexec_b32 s1, vcc_lo
	s_cbranch_execz .LBB0_13
; %bb.12:
	scratch_load_b32 v0, off, off offset:216 th:TH_LOAD_LU ; 4-byte Folded Reload
	v_fma_f64 v[66:67], v[170:171], 2.0, -v[62:63]
	v_fma_f64 v[64:65], v[168:169], 2.0, -v[60:61]
	s_wait_loadcnt 0x0
	v_mad_u16 v0, v0, 22, v221
	s_delay_alu instid0(VALU_DEP_1) | instskip(NEXT) | instid1(VALU_DEP_1)
	v_and_b32_e32 v0, 0xffff, v0
	v_lshlrev_b32_e32 v0, 4, v0
	ds_store_b128 v0, v[64:67]
	ds_store_b128 v0, v[60:63] offset:176
.LBB0_13:
	s_wait_alu 0xfffe
	s_or_b32 exec_lo, exec_lo, s1
	global_wb scope:SCOPE_SE
	s_wait_dscnt 0x0
	s_barrier_signal -1
	s_barrier_wait -1
	global_inv scope:SCOPE_SE
	ds_load_b128 v[64:67], v214 offset:2464
	ds_load_b128 v[68:71], v214
	s_mov_b32 s22, 0xf8bb580b
	s_mov_b32 s23, 0xbfe14ced
	;; [unrolled: 1-line block ×10, first 2 shown]
	s_wait_alu 0xfffe
	s_mov_b32 s30, s22
	s_mov_b32 s20, s34
	s_wait_dscnt 0x1
	v_mul_f64_e32 v[0:1], v[46:47], v[66:67]
	v_mul_f64_e32 v[2:3], v[46:47], v[64:65]
	s_delay_alu instid0(VALU_DEP_2) | instskip(NEXT) | instid1(VALU_DEP_2)
	v_fma_f64 v[0:1], v[44:45], v[64:65], v[0:1]
	v_fma_f64 v[2:3], v[44:45], v[66:67], -v[2:3]
	ds_load_b128 v[44:47], v214 offset:4928
	ds_load_b128 v[64:67], v214 offset:7392
	s_wait_dscnt 0x1
	v_mul_f64_e32 v[4:5], v[54:55], v[44:45]
	v_mul_f64_e32 v[6:7], v[54:55], v[46:47]
	s_wait_dscnt 0x0
	v_mul_f64_e32 v[14:15], v[130:131], v[66:67]
	v_mul_f64_e32 v[12:13], v[130:131], v[64:65]
	s_delay_alu instid0(VALU_DEP_4) | instskip(NEXT) | instid1(VALU_DEP_4)
	v_fma_f64 v[4:5], v[52:53], v[46:47], -v[4:5]
	v_fma_f64 v[6:7], v[52:53], v[44:45], v[6:7]
	ds_load_b128 v[44:47], v214 offset:24640
	v_fma_f64 v[14:15], v[128:129], v[64:65], v[14:15]
	v_fma_f64 v[12:13], v[128:129], v[66:67], -v[12:13]
	s_wait_dscnt 0x0
	v_mul_f64_e32 v[8:9], v[50:51], v[44:45]
	v_mul_f64_e32 v[10:11], v[50:51], v[46:47]
	s_delay_alu instid0(VALU_DEP_2) | instskip(NEXT) | instid1(VALU_DEP_2)
	v_fma_f64 v[8:9], v[48:49], v[46:47], -v[8:9]
	v_fma_f64 v[10:11], v[48:49], v[44:45], v[10:11]
	ds_load_b128 v[44:47], v214 offset:22176
	ds_load_b128 v[48:51], v214 offset:19712
	s_wait_dscnt 0x1
	v_mul_f64_e32 v[16:17], v[58:59], v[44:45]
	v_mul_f64_e32 v[18:19], v[58:59], v[46:47]
	s_wait_dscnt 0x0
	v_mul_f64_e32 v[20:21], v[122:123], v[48:49]
	v_mul_f64_e32 v[22:23], v[122:123], v[50:51]
	v_add_f64_e64 v[40:41], v[2:3], -v[8:9]
	v_add_f64_e64 v[78:79], v[0:1], -v[10:11]
	v_fma_f64 v[16:17], v[56:57], v[46:47], -v[16:17]
	v_fma_f64 v[18:19], v[56:57], v[44:45], v[18:19]
	v_fma_f64 v[20:21], v[120:121], v[50:51], -v[20:21]
	v_fma_f64 v[22:23], v[120:121], v[48:49], v[22:23]
	ds_load_b128 v[44:47], v214 offset:9856
	ds_load_b128 v[48:51], v214 offset:12320
	v_mul_f64_e32 v[42:43], s[22:23], v[40:41]
	s_wait_dscnt 0x1
	v_mul_f64_e32 v[24:25], v[106:107], v[46:47]
	v_mul_f64_e32 v[26:27], v[106:107], v[44:45]
	s_wait_dscnt 0x0
	v_mul_f64_e32 v[32:33], v[126:127], v[50:51]
	v_mul_f64_e32 v[34:35], v[126:127], v[48:49]
	v_add_f64_e64 v[120:121], v[6:7], -v[18:19]
	v_add_f64_e32 v[128:129], v[12:13], v[20:21]
	v_add_f64_e64 v[130:131], v[14:15], -v[22:23]
	v_fma_f64 v[24:25], v[104:105], v[44:45], v[24:25]
	v_fma_f64 v[26:27], v[104:105], v[46:47], -v[26:27]
	ds_load_b128 v[44:47], v214 offset:17248
	ds_load_b128 v[52:55], v214 offset:14784
	v_fma_f64 v[32:33], v[124:125], v[48:49], v[32:33]
	v_fma_f64 v[34:35], v[124:125], v[50:51], -v[34:35]
	v_mul_f64_e32 v[48:49], s[18:19], v[40:41]
	v_add_f64_e32 v[50:51], v[0:1], v[10:11]
	v_add_f64_e32 v[124:125], v[14:15], v[22:23]
	v_add_f64_e32 v[0:1], v[68:69], v[0:1]
	global_wb scope:SCOPE_SE
	s_wait_dscnt 0x0
	s_barrier_signal -1
	s_barrier_wait -1
	global_inv scope:SCOPE_SE
	v_mul_f64_e32 v[156:157], s[14:15], v[128:129]
	v_mul_f64_e32 v[186:187], s[8:9], v[128:129]
	;; [unrolled: 1-line block ×8, first 2 shown]
	v_add_f64_e32 v[110:111], v[6:7], v[18:19]
	v_add_f64_e32 v[118:119], v[4:5], v[16:17]
	v_fma_f64 v[58:59], v[50:51], s[10:11], v[48:49]
	v_fma_f64 v[48:49], v[50:51], s[10:11], -v[48:49]
	v_add_f64_e32 v[0:1], v[0:1], v[6:7]
	v_fma_f64 v[28:29], v[108:109], v[44:45], v[28:29]
	v_fma_f64 v[30:31], v[108:109], v[46:47], -v[30:31]
	v_mul_f64_e32 v[44:45], s[38:39], v[40:41]
	v_mul_f64_e32 v[46:47], s[36:37], v[40:41]
	;; [unrolled: 1-line block ×3, first 2 shown]
	v_fma_f64 v[36:37], v[116:117], v[52:53], v[36:37]
	v_fma_f64 v[38:39], v[116:117], v[54:55], -v[38:39]
	v_fma_f64 v[52:53], v[50:51], s[16:17], v[42:43]
	v_fma_f64 v[42:43], v[50:51], s[16:17], -v[42:43]
	v_mul_f64_e32 v[122:123], s[12:13], v[118:119]
	v_mul_f64_e32 v[182:183], s[10:11], v[118:119]
	;; [unrolled: 1-line block ×4, first 2 shown]
	v_add_f64_e32 v[58:59], v[68:69], v[58:59]
	v_add_f64_e32 v[48:49], v[68:69], v[48:49]
	;; [unrolled: 1-line block ×4, first 2 shown]
	v_add_f64_e64 v[158:159], v[26:27], -v[30:31]
	v_fma_f64 v[54:55], v[50:51], s[12:13], v[44:45]
	v_fma_f64 v[44:45], v[50:51], s[12:13], -v[44:45]
	v_fma_f64 v[56:57], v[50:51], s[14:15], v[46:47]
	v_fma_f64 v[46:47], v[50:51], s[14:15], -v[46:47]
	v_fma_f64 v[64:65], v[50:51], s[8:9], v[40:41]
	v_fma_f64 v[40:41], v[50:51], s[8:9], -v[40:41]
	v_add_f64_e32 v[50:51], v[2:3], v[8:9]
	v_add_f64_e32 v[90:91], v[68:69], v[52:53]
	;; [unrolled: 1-line block ×4, first 2 shown]
	v_add_f64_e64 v[166:167], v[24:25], -v[28:29]
	v_add_f64_e64 v[170:171], v[34:35], -v[38:39]
	v_add_f64_e32 v[172:173], v[32:33], v[36:37]
	v_add_f64_e64 v[176:177], v[32:33], -v[36:37]
	v_add_f64_e32 v[2:3], v[70:71], v[2:3]
	v_add_f64_e32 v[0:1], v[0:1], v[24:25]
	v_mul_f64_e32 v[162:163], s[18:19], v[158:159]
	v_add_f64_e32 v[54:55], v[68:69], v[54:55]
	v_mul_f64_e32 v[188:189], s[26:27], v[158:159]
	v_add_f64_e32 v[56:57], v[68:69], v[56:57]
	v_add_f64_e32 v[92:93], v[68:69], v[46:47]
	v_mul_f64_e32 v[202:203], s[22:23], v[158:159]
	v_add_f64_e32 v[40:41], v[68:69], v[40:41]
	v_mul_f64_e32 v[76:77], s[10:11], v[50:51]
	v_mul_f64_e32 v[66:67], s[16:17], v[50:51]
	;; [unrolled: 1-line block ×8, first 2 shown]
	s_wait_alu 0xfffe
	v_mul_f64_e32 v[192:193], s[30:31], v[170:171]
	v_mul_f64_e32 v[204:205], s[16:17], v[164:165]
	;; [unrolled: 1-line block ×6, first 2 shown]
	v_add_f64_e32 v[2:3], v[2:3], v[4:5]
	v_add_f64_e32 v[0:1], v[0:1], v[32:33]
	v_fma_f64 v[84:85], v[78:79], s[24:25], v[76:77]
	v_fma_f64 v[76:77], v[78:79], s[18:19], v[76:77]
	;; [unrolled: 1-line block ×10, first 2 shown]
	v_add_f64_e32 v[2:3], v[2:3], v[12:13]
	v_add_f64_e32 v[0:1], v[0:1], v[36:37]
	;; [unrolled: 1-line block ×3, first 2 shown]
	v_add_f64_e64 v[76:77], v[4:5], -v[16:17]
	v_add_f64_e32 v[52:53], v[70:71], v[88:89]
	v_add_f64_e32 v[88:89], v[68:69], v[44:45]
	v_add_f64_e32 v[78:79], v[70:71], v[80:81]
	v_add_f64_e32 v[80:81], v[70:71], v[82:83]
	v_add_f64_e32 v[82:83], v[70:71], v[84:85]
	v_add_f64_e32 v[84:85], v[68:69], v[64:65]
	v_add_f64_e32 v[108:109], v[70:71], v[66:67]
	v_add_f64_e32 v[86:87], v[70:71], v[86:87]
	v_add_f64_e32 v[50:51], v[70:71], v[50:51]
	v_add_f64_e32 v[104:105], v[70:71], v[74:75]
	v_add_f64_e32 v[106:107], v[70:71], v[72:73]
	v_add_f64_e32 v[2:3], v[2:3], v[26:27]
	v_add_f64_e32 v[0:1], v[0:1], v[28:29]
	v_mul_f64_e32 v[116:117], s[38:39], v[76:77]
	v_mul_f64_e32 v[180:181], s[18:19], v[76:77]
	;; [unrolled: 1-line block ×3, first 2 shown]
	v_add_f64_e32 v[2:3], v[2:3], v[34:35]
	v_add_f64_e32 v[0:1], v[0:1], v[22:23]
	v_fma_f64 v[44:45], v[110:111], s[12:13], -v[116:117]
	s_delay_alu instid0(VALU_DEP_3) | instskip(NEXT) | instid1(VALU_DEP_3)
	v_add_f64_e32 v[2:3], v[2:3], v[38:39]
	v_add_f64_e32 v[0:1], v[0:1], v[18:19]
	s_delay_alu instid0(VALU_DEP_3) | instskip(SKIP_1) | instid1(VALU_DEP_4)
	v_add_f64_e32 v[42:43], v[44:45], v[42:43]
	v_fma_f64 v[44:45], v[120:121], s[38:39], v[122:123]
	v_add_f64_e32 v[2:3], v[2:3], v[30:31]
	s_delay_alu instid0(VALU_DEP_2) | instskip(SKIP_1) | instid1(VALU_DEP_3)
	v_add_f64_e32 v[44:45], v[44:45], v[52:53]
	v_add_f64_e64 v[52:53], v[12:13], -v[20:21]
	v_add_f64_e32 v[2:3], v[2:3], v[20:21]
	s_delay_alu instid0(VALU_DEP_2)
	v_mul_f64_e32 v[126:127], s[36:37], v[52:53]
	v_mul_f64_e32 v[184:185], s[20:21], v[52:53]
	;; [unrolled: 1-line block ×5, first 2 shown]
	v_add_f64_e32 v[2:3], v[2:3], v[16:17]
	v_fma_f64 v[46:47], v[124:125], s[14:15], -v[126:127]
	v_fma_f64 v[66:67], v[124:125], s[8:9], v[184:185]
	v_fma_f64 v[70:71], v[124:125], s[12:13], v[198:199]
	;; [unrolled: 1-line block ×3, first 2 shown]
	s_delay_alu instid0(VALU_DEP_4) | instskip(SKIP_1) | instid1(VALU_DEP_1)
	v_add_f64_e32 v[42:43], v[46:47], v[42:43]
	v_fma_f64 v[46:47], v[130:131], s[36:37], v[156:157]
	v_add_f64_e32 v[44:45], v[46:47], v[44:45]
	v_fma_f64 v[46:47], v[160:161], s[10:11], -v[162:163]
	s_delay_alu instid0(VALU_DEP_1) | instskip(SKIP_1) | instid1(VALU_DEP_1)
	v_add_f64_e32 v[42:43], v[46:47], v[42:43]
	v_fma_f64 v[46:47], v[166:167], s[18:19], v[168:169]
	v_add_f64_e32 v[46:47], v[46:47], v[44:45]
	v_fma_f64 v[44:45], v[172:173], s[8:9], -v[174:175]
	s_delay_alu instid0(VALU_DEP_1) | instskip(SKIP_1) | instid1(VALU_DEP_1)
	v_add_f64_e32 v[44:45], v[44:45], v[42:43]
	v_add_f64_e32 v[42:43], v[34:35], v[38:39]
	v_mul_f64_e32 v[178:179], s[8:9], v[42:43]
	v_mul_f64_e32 v[194:195], s[16:17], v[42:43]
	s_delay_alu instid0(VALU_DEP_2) | instskip(NEXT) | instid1(VALU_DEP_1)
	v_fma_f64 v[64:65], v[176:177], s[34:35], v[178:179]
	v_add_f64_e32 v[46:47], v[64:65], v[46:47]
	v_fma_f64 v[64:65], v[110:111], s[10:11], v[180:181]
	s_delay_alu instid0(VALU_DEP_1) | instskip(SKIP_1) | instid1(VALU_DEP_2)
	v_add_f64_e32 v[54:55], v[64:65], v[54:55]
	v_fma_f64 v[64:65], v[120:121], s[24:25], v[182:183]
	v_add_f64_e32 v[54:55], v[66:67], v[54:55]
	s_delay_alu instid0(VALU_DEP_2) | instskip(SKIP_1) | instid1(VALU_DEP_1)
	v_add_f64_e32 v[64:65], v[64:65], v[78:79]
	v_fma_f64 v[66:67], v[130:131], s[34:35], v[186:187]
	v_add_f64_e32 v[64:65], v[66:67], v[64:65]
	v_fma_f64 v[66:67], v[160:161], s[14:15], v[188:189]
	s_delay_alu instid0(VALU_DEP_1) | instskip(SKIP_1) | instid1(VALU_DEP_1)
	v_add_f64_e32 v[54:55], v[66:67], v[54:55]
	v_fma_f64 v[66:67], v[166:167], s[36:37], v[190:191]
	v_add_f64_e32 v[66:67], v[66:67], v[64:65]
	v_fma_f64 v[64:65], v[172:173], s[16:17], v[192:193]
	s_delay_alu instid0(VALU_DEP_1) | instskip(SKIP_1) | instid1(VALU_DEP_1)
	v_add_f64_e32 v[64:65], v[64:65], v[54:55]
	v_fma_f64 v[54:55], v[176:177], s[22:23], v[194:195]
	v_add_f64_e32 v[66:67], v[54:55], v[66:67]
	v_mul_f64_e32 v[54:55], s[20:21], v[76:77]
	s_delay_alu instid0(VALU_DEP_1) | instskip(NEXT) | instid1(VALU_DEP_1)
	v_fma_f64 v[68:69], v[110:111], s[8:9], v[54:55]
	v_add_f64_e32 v[56:57], v[68:69], v[56:57]
	v_fma_f64 v[68:69], v[120:121], s[34:35], v[196:197]
	s_delay_alu instid0(VALU_DEP_2) | instskip(NEXT) | instid1(VALU_DEP_2)
	v_add_f64_e32 v[56:57], v[70:71], v[56:57]
	v_add_f64_e32 v[68:69], v[68:69], v[80:81]
	v_fma_f64 v[70:71], v[130:131], s[38:39], v[200:201]
	v_mul_f64_e32 v[80:81], s[30:31], v[76:77]
	s_delay_alu instid0(VALU_DEP_2) | instskip(SKIP_1) | instid1(VALU_DEP_3)
	v_add_f64_e32 v[68:69], v[70:71], v[68:69]
	v_fma_f64 v[70:71], v[160:161], s[16:17], v[202:203]
	v_fma_f64 v[76:77], v[110:111], s[16:17], v[80:81]
	v_fma_f64 v[80:81], v[110:111], s[16:17], -v[80:81]
	s_delay_alu instid0(VALU_DEP_3) | instskip(SKIP_1) | instid1(VALU_DEP_4)
	v_add_f64_e32 v[56:57], v[70:71], v[56:57]
	v_fma_f64 v[70:71], v[166:167], s[30:31], v[204:205]
	v_add_f64_e32 v[76:77], v[76:77], v[84:85]
	v_fma_f64 v[84:85], v[124:125], s[10:11], v[52:53]
	v_add_f64_e32 v[40:41], v[80:81], v[40:41]
	v_fma_f64 v[52:53], v[124:125], s[10:11], -v[52:53]
	v_add_f64_e32 v[70:71], v[70:71], v[68:69]
	v_fma_f64 v[68:69], v[172:173], s[10:11], v[206:207]
	v_add_f64_e32 v[76:77], v[84:85], v[76:77]
	v_mul_f64_e32 v[84:85], s[10:11], v[128:129]
	v_add_f64_e32 v[40:41], v[52:53], v[40:41]
	s_delay_alu instid0(VALU_DEP_4) | instskip(SKIP_1) | instid1(VALU_DEP_4)
	v_add_f64_e32 v[68:69], v[68:69], v[56:57]
	v_mul_f64_e32 v[56:57], s[10:11], v[42:43]
	v_fma_f64 v[52:53], v[130:131], s[18:19], v[84:85]
	s_delay_alu instid0(VALU_DEP_2) | instskip(NEXT) | instid1(VALU_DEP_1)
	v_fma_f64 v[72:73], v[176:177], s[24:25], v[56:57]
	v_add_f64_e32 v[70:71], v[72:73], v[70:71]
	v_fma_f64 v[72:73], v[110:111], s[14:15], v[208:209]
	s_delay_alu instid0(VALU_DEP_1) | instskip(SKIP_1) | instid1(VALU_DEP_2)
	v_add_f64_e32 v[58:59], v[72:73], v[58:59]
	v_fma_f64 v[72:73], v[120:121], s[36:37], v[210:211]
	v_add_f64_e32 v[58:59], v[74:75], v[58:59]
	s_delay_alu instid0(VALU_DEP_2) | instskip(SKIP_2) | instid1(VALU_DEP_2)
	v_add_f64_e32 v[72:73], v[72:73], v[82:83]
	v_fma_f64 v[74:75], v[130:131], s[30:31], v[217:218]
	v_mul_f64_e32 v[82:83], s[16:17], v[118:119]
	v_add_f64_e32 v[72:73], v[74:75], v[72:73]
	v_fma_f64 v[74:75], v[160:161], s[8:9], v[219:220]
	s_delay_alu instid0(VALU_DEP_3) | instskip(NEXT) | instid1(VALU_DEP_2)
	v_fma_f64 v[80:81], v[120:121], s[30:31], v[82:83]
	v_add_f64_e32 v[58:59], v[74:75], v[58:59]
	v_fma_f64 v[74:75], v[166:167], s[20:21], v[223:224]
	s_delay_alu instid0(VALU_DEP_3) | instskip(NEXT) | instid1(VALU_DEP_2)
	v_add_f64_e32 v[50:51], v[80:81], v[50:51]
	v_add_f64_e32 v[74:75], v[74:75], v[72:73]
	v_fma_f64 v[72:73], v[172:173], s[12:13], v[225:226]
	s_delay_alu instid0(VALU_DEP_3) | instskip(NEXT) | instid1(VALU_DEP_2)
	v_add_f64_e32 v[50:51], v[52:53], v[50:51]
	v_add_f64_e32 v[72:73], v[72:73], v[58:59]
	v_mul_f64_e32 v[58:59], s[12:13], v[42:43]
	v_mul_f64_e32 v[42:43], s[14:15], v[42:43]
	s_delay_alu instid0(VALU_DEP_2) | instskip(NEXT) | instid1(VALU_DEP_1)
	v_fma_f64 v[78:79], v[176:177], s[38:39], v[58:59]
	v_add_f64_e32 v[74:75], v[78:79], v[74:75]
	v_fma_f64 v[78:79], v[120:121], s[22:23], v[82:83]
	s_delay_alu instid0(VALU_DEP_1) | instskip(SKIP_2) | instid1(VALU_DEP_2)
	v_add_f64_e32 v[78:79], v[78:79], v[86:87]
	v_fma_f64 v[86:87], v[130:131], s[24:25], v[84:85]
	v_fma_f64 v[84:85], v[124:125], s[14:15], v[126:127]
	v_add_f64_e32 v[78:79], v[86:87], v[78:79]
	v_mul_f64_e32 v[86:87], s[28:29], v[158:159]
	s_delay_alu instid0(VALU_DEP_1) | instskip(SKIP_2) | instid1(VALU_DEP_3)
	v_fma_f64 v[118:119], v[160:161], s[12:13], v[86:87]
	v_fma_f64 v[52:53], v[160:161], s[12:13], -v[86:87]
	v_fma_f64 v[86:87], v[130:131], s[26:27], v[156:157]
	v_add_f64_e32 v[76:77], v[118:119], v[76:77]
	v_mul_f64_e32 v[118:119], s[12:13], v[164:165]
	s_delay_alu instid0(VALU_DEP_4) | instskip(NEXT) | instid1(VALU_DEP_2)
	v_add_f64_e32 v[40:41], v[52:53], v[40:41]
	v_fma_f64 v[128:129], v[166:167], s[38:39], v[118:119]
	v_fma_f64 v[52:53], v[166:167], s[28:29], v[118:119]
	s_delay_alu instid0(VALU_DEP_2) | instskip(SKIP_1) | instid1(VALU_DEP_3)
	v_add_f64_e32 v[78:79], v[128:129], v[78:79]
	v_mul_f64_e32 v[128:129], s[36:37], v[170:171]
	v_add_f64_e32 v[50:51], v[52:53], v[50:51]
	s_delay_alu instid0(VALU_DEP_2) | instskip(SKIP_1) | instid1(VALU_DEP_2)
	v_fma_f64 v[158:159], v[172:173], s[14:15], v[128:129]
	v_fma_f64 v[52:53], v[172:173], s[14:15], -v[128:129]
	v_add_f64_e32 v[76:77], v[158:159], v[76:77]
	v_fma_f64 v[158:159], v[176:177], s[26:27], v[42:43]
	v_fma_f64 v[42:43], v[176:177], s[36:37], v[42:43]
	s_delay_alu instid0(VALU_DEP_4)
	v_add_f64_e32 v[80:81], v[52:53], v[40:41]
	v_fma_f64 v[40:41], v[110:111], s[14:15], -v[208:209]
	v_fma_f64 v[52:53], v[124:125], s[12:13], -v[198:199]
	v_add_f64_e32 v[78:79], v[158:159], v[78:79]
	v_add_f64_e32 v[82:83], v[42:43], v[50:51]
	v_fma_f64 v[42:43], v[120:121], s[26:27], v[210:211]
	v_add_f64_e32 v[40:41], v[40:41], v[48:49]
	v_fma_f64 v[48:49], v[124:125], s[16:17], -v[215:216]
	v_fma_f64 v[50:51], v[176:177], s[28:29], v[58:59]
	v_fma_f64 v[58:59], v[176:177], s[30:31], v[194:195]
	v_add_f64_e32 v[42:43], v[42:43], v[94:95]
	s_delay_alu instid0(VALU_DEP_4) | instskip(SKIP_1) | instid1(VALU_DEP_1)
	v_add_f64_e32 v[40:41], v[48:49], v[40:41]
	v_fma_f64 v[48:49], v[130:131], s[22:23], v[217:218]
	v_add_f64_e32 v[42:43], v[48:49], v[42:43]
	v_fma_f64 v[48:49], v[160:161], s[8:9], -v[219:220]
	s_delay_alu instid0(VALU_DEP_1) | instskip(SKIP_1) | instid1(VALU_DEP_1)
	v_add_f64_e32 v[40:41], v[48:49], v[40:41]
	v_fma_f64 v[48:49], v[166:167], s[34:35], v[223:224]
	v_add_f64_e32 v[42:43], v[48:49], v[42:43]
	v_fma_f64 v[48:49], v[172:173], s[12:13], -v[225:226]
	s_delay_alu instid0(VALU_DEP_2) | instskip(NEXT) | instid1(VALU_DEP_2)
	v_add_f64_e32 v[50:51], v[50:51], v[42:43]
	v_add_f64_e32 v[48:49], v[48:49], v[40:41]
	v_fma_f64 v[40:41], v[110:111], s[8:9], -v[54:55]
	v_fma_f64 v[42:43], v[120:121], s[20:21], v[196:197]
	v_fma_f64 v[54:55], v[176:177], s[18:19], v[56:57]
	v_fma_f64 v[56:57], v[124:125], s[8:9], -v[184:185]
	s_delay_alu instid0(VALU_DEP_4) | instskip(NEXT) | instid1(VALU_DEP_4)
	v_add_f64_e32 v[40:41], v[40:41], v[92:93]
	v_add_f64_e32 v[42:43], v[42:43], v[104:105]
	s_delay_alu instid0(VALU_DEP_2) | instskip(SKIP_1) | instid1(VALU_DEP_1)
	v_add_f64_e32 v[40:41], v[52:53], v[40:41]
	v_fma_f64 v[52:53], v[130:131], s[28:29], v[200:201]
	v_add_f64_e32 v[42:43], v[52:53], v[42:43]
	v_fma_f64 v[52:53], v[160:161], s[16:17], -v[202:203]
	s_delay_alu instid0(VALU_DEP_1) | instskip(SKIP_1) | instid1(VALU_DEP_1)
	v_add_f64_e32 v[40:41], v[52:53], v[40:41]
	v_fma_f64 v[52:53], v[166:167], s[22:23], v[204:205]
	v_add_f64_e32 v[42:43], v[52:53], v[42:43]
	v_fma_f64 v[52:53], v[172:173], s[10:11], -v[206:207]
	s_delay_alu instid0(VALU_DEP_2) | instskip(NEXT) | instid1(VALU_DEP_2)
	v_add_f64_e32 v[54:55], v[54:55], v[42:43]
	v_add_f64_e32 v[52:53], v[52:53], v[40:41]
	v_fma_f64 v[40:41], v[110:111], s[10:11], -v[180:181]
	v_fma_f64 v[42:43], v[120:121], s[18:19], v[182:183]
	s_delay_alu instid0(VALU_DEP_2) | instskip(NEXT) | instid1(VALU_DEP_2)
	v_add_f64_e32 v[40:41], v[40:41], v[88:89]
	v_add_f64_e32 v[42:43], v[42:43], v[106:107]
	v_fma_f64 v[88:89], v[160:161], s[10:11], v[162:163]
	s_delay_alu instid0(VALU_DEP_3) | instskip(SKIP_1) | instid1(VALU_DEP_1)
	v_add_f64_e32 v[40:41], v[56:57], v[40:41]
	v_fma_f64 v[56:57], v[130:131], s[20:21], v[186:187]
	v_add_f64_e32 v[42:43], v[56:57], v[42:43]
	v_fma_f64 v[56:57], v[160:161], s[14:15], -v[188:189]
	s_delay_alu instid0(VALU_DEP_1) | instskip(SKIP_1) | instid1(VALU_DEP_1)
	v_add_f64_e32 v[40:41], v[56:57], v[40:41]
	v_fma_f64 v[56:57], v[166:167], s[26:27], v[190:191]
	v_add_f64_e32 v[42:43], v[56:57], v[42:43]
	v_fma_f64 v[56:57], v[172:173], s[16:17], -v[192:193]
	s_delay_alu instid0(VALU_DEP_2) | instskip(NEXT) | instid1(VALU_DEP_2)
	v_add_f64_e32 v[58:59], v[58:59], v[42:43]
	v_add_f64_e32 v[56:57], v[56:57], v[40:41]
	v_fma_f64 v[40:41], v[110:111], s[12:13], v[116:117]
	v_fma_f64 v[42:43], v[120:121], s[28:29], v[122:123]
	v_add_f64_e32 v[110:111], v[2:3], v[8:9]
	s_delay_alu instid0(VALU_DEP_3) | instskip(NEXT) | instid1(VALU_DEP_3)
	v_add_f64_e32 v[40:41], v[40:41], v[90:91]
	v_add_f64_e32 v[42:43], v[42:43], v[108:109]
	v_fma_f64 v[90:91], v[166:167], s[24:25], v[168:169]
	v_add_f64_e32 v[108:109], v[0:1], v[10:11]
	s_delay_alu instid0(VALU_DEP_4) | instskip(NEXT) | instid1(VALU_DEP_4)
	v_add_f64_e32 v[40:41], v[84:85], v[40:41]
	v_add_f64_e32 v[42:43], v[86:87], v[42:43]
	v_fma_f64 v[84:85], v[172:173], s[8:9], v[174:175]
	v_fma_f64 v[86:87], v[176:177], s[20:21], v[178:179]
	s_delay_alu instid0(VALU_DEP_4) | instskip(NEXT) | instid1(VALU_DEP_4)
	v_add_f64_e32 v[40:41], v[88:89], v[40:41]
	v_add_f64_e32 v[42:43], v[90:91], v[42:43]
	s_delay_alu instid0(VALU_DEP_2) | instskip(NEXT) | instid1(VALU_DEP_2)
	v_add_f64_e32 v[104:105], v[84:85], v[40:41]
	v_add_f64_e32 v[106:107], v[86:87], v[42:43]
	ds_store_b128 v222, v[64:67] offset:704
	ds_store_b128 v222, v[68:71] offset:1056
	;; [unrolled: 1-line block ×10, first 2 shown]
	ds_store_b128 v222, v[108:111]
	global_wb scope:SCOPE_SE
	s_wait_dscnt 0x0
	s_barrier_signal -1
	s_barrier_wait -1
	global_inv scope:SCOPE_SE
	ds_load_b128 v[64:67], v214
	ds_load_b128 v[104:107], v214 offset:3872
	ds_load_b128 v[80:83], v214 offset:7744
	;; [unrolled: 1-line block ×6, first 2 shown]
	s_and_saveexec_b32 s1, s0
	s_cbranch_execz .LBB0_15
; %bb.14:
	ds_load_b128 v[48:51], v214 offset:2464
	ds_load_b128 v[52:55], v214 offset:6336
	;; [unrolled: 1-line block ×6, first 2 shown]
	s_wait_dscnt 0x0
	scratch_store_b128 off, v[0:3], off     ; 16-byte Folded Spill
	ds_load_b128 v[0:3], v214 offset:25696
	s_wait_dscnt 0x0
	scratch_store_b128 off, v[0:3], off offset:16 ; 16-byte Folded Spill
.LBB0_15:
	s_wait_alu 0xfffe
	s_or_b32 exec_lo, exec_lo, s1
	s_wait_dscnt 0x5
	v_mul_f64_e32 v[0:1], v[134:135], v[106:107]
	v_mul_f64_e32 v[2:3], v[134:135], v[104:105]
	s_wait_dscnt 0x4
	v_mul_f64_e32 v[4:5], v[138:139], v[82:83]
	v_mul_f64_e32 v[6:7], v[138:139], v[80:81]
	;; [unrolled: 3-line block ×3, first 2 shown]
	v_mul_f64_e32 v[12:13], v[146:147], v[78:79]
	v_mul_f64_e32 v[14:15], v[146:147], v[76:77]
	;; [unrolled: 1-line block ×6, first 2 shown]
	s_mov_b32 s10, 0x37e14327
	s_mov_b32 s14, 0xe976ee23
	;; [unrolled: 1-line block ×16, first 2 shown]
	s_wait_alu 0xfffe
	s_mov_b32 s20, s16
	s_mov_b32 s24, s22
	;; [unrolled: 1-line block ×4, first 2 shown]
	v_fma_f64 v[0:1], v[132:133], v[104:105], v[0:1]
	v_fma_f64 v[2:3], v[132:133], v[106:107], -v[2:3]
	v_fma_f64 v[4:5], v[136:137], v[80:81], v[4:5]
	v_fma_f64 v[6:7], v[136:137], v[82:83], -v[6:7]
	;; [unrolled: 2-line block ×6, first 2 shown]
	v_add_f64_e32 v[24:25], v[0:1], v[8:9]
	v_add_f64_e32 v[26:27], v[2:3], v[10:11]
	;; [unrolled: 1-line block ×4, first 2 shown]
	v_add_f64_e64 v[4:5], v[4:5], -v[12:13]
	v_add_f64_e64 v[6:7], v[6:7], -v[14:15]
	v_add_f64_e32 v[12:13], v[16:17], v[20:21]
	v_add_f64_e32 v[14:15], v[18:19], v[22:23]
	v_add_f64_e64 v[16:17], v[20:21], -v[16:17]
	v_add_f64_e64 v[18:19], v[22:23], -v[18:19]
	;; [unrolled: 1-line block ×4, first 2 shown]
	v_add_f64_e32 v[8:9], v[28:29], v[24:25]
	v_add_f64_e32 v[10:11], v[30:31], v[26:27]
	v_add_f64_e64 v[20:21], v[24:25], -v[12:13]
	v_add_f64_e64 v[22:23], v[26:27], -v[14:15]
	;; [unrolled: 1-line block ×6, first 2 shown]
	v_add_f64_e32 v[4:5], v[16:17], v[4:5]
	v_add_f64_e32 v[6:7], v[18:19], v[6:7]
	v_add_f64_e64 v[16:17], v[0:1], -v[16:17]
	v_add_f64_e64 v[18:19], v[2:3], -v[18:19]
	;; [unrolled: 1-line block ×4, first 2 shown]
	v_add_f64_e32 v[8:9], v[12:13], v[8:9]
	v_add_f64_e32 v[10:11], v[14:15], v[10:11]
	v_add_f64_e64 v[12:13], v[12:13], -v[28:29]
	v_add_f64_e64 v[14:15], v[14:15], -v[30:31]
	v_mul_f64_e32 v[20:21], s[10:11], v[20:21]
	v_mul_f64_e32 v[22:23], s[10:11], v[22:23]
	v_mul_f64_e32 v[32:33], s[14:15], v[32:33]
	v_mul_f64_e32 v[34:35], s[14:15], v[34:35]
	v_mul_f64_e32 v[40:41], s[8:9], v[36:37]
	v_mul_f64_e32 v[42:43], s[8:9], v[38:39]
	v_add_f64_e32 v[0:1], v[4:5], v[0:1]
	v_add_f64_e32 v[2:3], v[6:7], v[2:3]
	;; [unrolled: 1-line block ×4, first 2 shown]
	v_mul_f64_e32 v[28:29], s[18:19], v[12:13]
	v_mul_f64_e32 v[30:31], s[18:19], v[14:15]
	v_fma_f64 v[4:5], v[12:13], s[18:19], v[20:21]
	v_fma_f64 v[6:7], v[14:15], s[18:19], v[22:23]
	;; [unrolled: 1-line block ×4, first 2 shown]
	v_fma_f64 v[32:33], v[36:37], s[8:9], -v[32:33]
	v_fma_f64 v[34:35], v[38:39], s[8:9], -v[34:35]
	s_wait_alu 0xfffe
	v_fma_f64 v[16:17], v[16:17], s[24:25], -v[40:41]
	v_fma_f64 v[18:19], v[18:19], s[24:25], -v[42:43]
	;; [unrolled: 1-line block ×4, first 2 shown]
	v_fma_f64 v[8:9], v[8:9], s[12:13], v[64:65]
	v_fma_f64 v[10:11], v[10:11], s[12:13], v[66:67]
	v_fma_f64 v[24:25], v[24:25], s[16:17], -v[28:29]
	v_fma_f64 v[26:27], v[26:27], s[16:17], -v[30:31]
	v_fma_f64 v[12:13], v[0:1], s[26:27], v[12:13]
	v_fma_f64 v[14:15], v[2:3], s[26:27], v[14:15]
	;; [unrolled: 1-line block ×6, first 2 shown]
	v_add_f64_e32 v[4:5], v[4:5], v[8:9]
	v_add_f64_e32 v[6:7], v[6:7], v[10:11]
	;; [unrolled: 1-line block ×7, first 2 shown]
	v_add_f64_e64 v[70:71], v[6:7], -v[12:13]
	v_add_f64_e32 v[72:73], v[2:3], v[16:17]
	v_add_f64_e64 v[74:75], v[18:19], -v[0:1]
	v_add_f64_e64 v[76:77], v[8:9], -v[30:31]
	v_add_f64_e32 v[78:79], v[28:29], v[10:11]
	v_add_f64_e32 v[80:81], v[30:31], v[8:9]
	v_add_f64_e64 v[82:83], v[10:11], -v[28:29]
	v_add_f64_e64 v[104:105], v[16:17], -v[2:3]
	v_add_f64_e32 v[106:107], v[0:1], v[18:19]
	v_add_f64_e64 v[108:109], v[4:5], -v[14:15]
	v_add_f64_e32 v[110:111], v[12:13], v[6:7]
	ds_store_b128 v214, v[64:67]
	ds_store_b128 v214, v[68:71] offset:3872
	ds_store_b128 v214, v[72:75] offset:7744
	;; [unrolled: 1-line block ×6, first 2 shown]
	s_and_saveexec_b32 s1, s0
	s_cbranch_execz .LBB0_17
; %bb.16:
	s_clause 0x4
	scratch_load_b128 v[32:35], off, off offset:272 th:TH_LOAD_LU
	scratch_load_b128 v[40:43], off, off offset:16 th:TH_LOAD_LU
	scratch_load_b128 v[24:27], off, off offset:240 th:TH_LOAD_LU
	scratch_load_b128 v[36:39], off, off th:TH_LOAD_LU
	scratch_load_b128 v[28:31], off, off offset:256 th:TH_LOAD_LU
	v_mul_f64_e32 v[16:17], v[114:115], v[62:63]
	v_mul_f64_e32 v[18:19], v[102:103], v[46:47]
	;; [unrolled: 1-line block ×4, first 2 shown]
	s_delay_alu instid0(VALU_DEP_4) | instskip(NEXT) | instid1(VALU_DEP_4)
	v_fma_f64 v[16:17], v[112:113], v[60:61], v[16:17]
	v_fma_f64 v[18:19], v[100:101], v[44:45], v[18:19]
	s_delay_alu instid0(VALU_DEP_4) | instskip(NEXT) | instid1(VALU_DEP_4)
	v_fma_f64 v[20:21], v[100:101], v[46:47], -v[20:21]
	v_fma_f64 v[22:23], v[112:113], v[62:63], -v[22:23]
	s_wait_loadcnt 0x3
	v_mul_f64_e32 v[0:1], v[34:35], v[40:41]
	s_wait_loadcnt 0x2
	v_mul_f64_e32 v[2:3], v[26:27], v[52:53]
	;; [unrolled: 2-line block ×4, first 2 shown]
	v_mul_f64_e32 v[8:9], v[26:27], v[54:55]
	v_mul_f64_e32 v[10:11], v[34:35], v[42:43]
	;; [unrolled: 1-line block ×4, first 2 shown]
	v_fma_f64 v[0:1], v[32:33], v[42:43], -v[0:1]
	v_fma_f64 v[2:3], v[24:25], v[54:55], -v[2:3]
	;; [unrolled: 1-line block ×4, first 2 shown]
	v_fma_f64 v[8:9], v[24:25], v[52:53], v[8:9]
	v_fma_f64 v[10:11], v[32:33], v[40:41], v[10:11]
	;; [unrolled: 1-line block ×4, first 2 shown]
	v_add_f64_e64 v[32:33], v[16:17], -v[18:19]
	v_add_f64_e32 v[16:17], v[18:19], v[16:17]
	v_add_f64_e64 v[18:19], v[22:23], -v[20:21]
	v_add_f64_e32 v[24:25], v[2:3], v[0:1]
	v_add_f64_e64 v[0:1], v[2:3], -v[0:1]
	v_add_f64_e32 v[26:27], v[6:7], v[4:5]
	v_add_f64_e64 v[4:5], v[6:7], -v[4:5]
	v_add_f64_e32 v[28:29], v[8:9], v[10:11]
	v_add_f64_e64 v[8:9], v[8:9], -v[10:11]
	v_add_f64_e32 v[30:31], v[12:13], v[14:15]
	v_add_f64_e64 v[12:13], v[12:13], -v[14:15]
	v_add_f64_e32 v[14:15], v[20:21], v[22:23]
	v_add_f64_e32 v[10:11], v[26:27], v[24:25]
	v_add_f64_e64 v[36:37], v[18:19], -v[4:5]
	v_add_f64_e64 v[22:23], v[28:29], -v[16:17]
	v_add_f64_e64 v[38:39], v[4:5], -v[0:1]
	v_add_f64_e32 v[2:3], v[30:31], v[28:29]
	v_add_f64_e64 v[6:7], v[32:33], -v[12:13]
	v_add_f64_e64 v[20:21], v[24:25], -v[14:15]
	;; [unrolled: 1-line block ×4, first 2 shown]
	v_add_f64_e32 v[12:13], v[32:33], v[12:13]
	v_add_f64_e32 v[4:5], v[18:19], v[4:5]
	v_add_f64_e64 v[18:19], v[0:1], -v[18:19]
	v_add_f64_e64 v[24:25], v[26:27], -v[24:25]
	;; [unrolled: 1-line block ×3, first 2 shown]
	v_add_f64_e32 v[10:11], v[14:15], v[10:11]
	v_add_f64_e64 v[14:15], v[14:15], -v[26:27]
	v_mul_f64_e32 v[22:23], s[10:11], v[22:23]
	v_mul_f64_e32 v[36:37], s[14:15], v[36:37]
	v_add_f64_e32 v[2:3], v[16:17], v[2:3]
	v_add_f64_e64 v[16:17], v[16:17], -v[30:31]
	v_mul_f64_e32 v[6:7], s[14:15], v[6:7]
	v_mul_f64_e32 v[20:21], s[10:11], v[20:21]
	;; [unrolled: 1-line block ×4, first 2 shown]
	v_add_f64_e32 v[8:9], v[12:13], v[8:9]
	v_add_f64_e32 v[0:1], v[4:5], v[0:1]
	;; [unrolled: 1-line block ×3, first 2 shown]
	v_mul_f64_e32 v[26:27], s[18:19], v[14:15]
	v_add_f64_e32 v[44:45], v[48:49], v[2:3]
	v_mul_f64_e32 v[30:31], s[18:19], v[16:17]
	v_fma_f64 v[4:5], v[40:41], s[22:23], v[6:7]
	v_fma_f64 v[12:13], v[14:15], s[18:19], v[20:21]
	;; [unrolled: 1-line block ×3, first 2 shown]
	v_fma_f64 v[16:17], v[40:41], s[24:25], -v[32:33]
	v_fma_f64 v[6:7], v[34:35], s[8:9], -v[6:7]
	;; [unrolled: 1-line block ×5, first 2 shown]
	v_fma_f64 v[10:11], v[10:11], s[12:13], v[46:47]
	v_fma_f64 v[24:25], v[24:25], s[16:17], -v[26:27]
	v_fma_f64 v[26:27], v[18:19], s[22:23], v[36:37]
	v_fma_f64 v[18:19], v[18:19], s[24:25], -v[42:43]
	;; [unrolled: 2-line block ×3, first 2 shown]
	v_fma_f64 v[4:5], v[8:9], s[26:27], v[4:5]
	v_fma_f64 v[16:17], v[8:9], s[26:27], v[16:17]
	;; [unrolled: 1-line block ×3, first 2 shown]
	v_add_f64_e32 v[8:9], v[12:13], v[10:11]
	v_add_f64_e32 v[12:13], v[20:21], v[10:11]
	v_fma_f64 v[20:21], v[0:1], s[26:27], v[26:27]
	v_fma_f64 v[18:19], v[0:1], s[26:27], v[18:19]
	v_add_f64_e32 v[14:15], v[14:15], v[2:3]
	v_add_f64_e32 v[22:23], v[22:23], v[2:3]
	;; [unrolled: 1-line block ×3, first 2 shown]
	v_fma_f64 v[0:1], v[0:1], s[26:27], v[32:33]
	v_add_f64_e32 v[2:3], v[28:29], v[2:3]
	v_add_f64_e64 v[70:71], v[8:9], -v[4:5]
	v_add_f64_e64 v[66:67], v[12:13], -v[16:17]
	v_add_f64_e32 v[54:55], v[16:17], v[12:13]
	v_add_f64_e32 v[50:51], v[4:5], v[8:9]
	;; [unrolled: 1-line block ×5, first 2 shown]
	v_add_f64_e64 v[58:59], v[10:11], -v[6:7]
	v_add_f64_e64 v[60:61], v[2:3], -v[0:1]
	v_add_f64_e32 v[56:57], v[0:1], v[2:3]
	v_add_f64_e64 v[52:53], v[22:23], -v[18:19]
	v_add_f64_e64 v[48:49], v[14:15], -v[20:21]
	ds_store_b128 v214, v[44:47] offset:2464
	ds_store_b128 v214, v[68:71] offset:6336
	;; [unrolled: 1-line block ×7, first 2 shown]
.LBB0_17:
	s_wait_alu 0xfffe
	s_or_b32 exec_lo, exec_lo, s1
	global_wb scope:SCOPE_SE
	s_wait_storecnt_dscnt 0x0
	s_barrier_signal -1
	s_barrier_wait -1
	global_inv scope:SCOPE_SE
	ds_load_b128 v[44:47], v214
	ds_load_b128 v[48:51], v214 offset:2464
	ds_load_b128 v[52:55], v214 offset:4928
	;; [unrolled: 1-line block ×3, first 2 shown]
	scratch_load_b64 v[0:1], off, off offset:32 th:TH_LOAD_LU ; 8-byte Folded Reload
	ds_load_b128 v[60:63], v214 offset:9856
	ds_load_b128 v[64:67], v214 offset:12320
	;; [unrolled: 1-line block ×6, first 2 shown]
	s_clause 0x1
	scratch_load_b128 v[94:97], off, off offset:40 th:TH_LOAD_LU
	scratch_load_b128 v[114:117], off, off offset:184 th:TH_LOAD_LU
	v_mad_co_u64_u32 v[2:3], null, s4, v213, 0
	ds_load_b128 v[84:87], v214 offset:24640
	s_mov_b32 s0, 0xe9078e5b
	s_mov_b32 s1, 0x3f4357f3
	s_wait_loadcnt 0x2
	v_mov_b32_e32 v20, v0
	s_wait_loadcnt_dscnt 0x10a
	v_mul_f64_e32 v[4:5], v[96:97], v[46:47]
	v_mul_f64_e32 v[6:7], v[96:97], v[44:45]
	scratch_load_b128 v[96:99], off, off offset:56 th:TH_LOAD_LU ; 16-byte Folded Reload
	s_wait_loadcnt_dscnt 0x102
	v_mul_f64_e32 v[38:39], v[116:117], v[78:79]
	v_mul_f64_e32 v[40:41], v[116:117], v[76:77]
	scratch_load_b128 v[116:119], off, off offset:200 th:TH_LOAD_LU ; 16-byte Folded Reload
	v_mad_co_u64_u32 v[0:1], null, s6, v20, 0
	s_delay_alu instid0(VALU_DEP_1) | instskip(NEXT) | instid1(VALU_DEP_1)
	v_mad_co_u64_u32 v[20:21], null, s7, v20, v[1:2]
	v_mov_b32_e32 v1, v20
	s_delay_alu instid0(VALU_DEP_1) | instskip(NEXT) | instid1(VALU_DEP_1)
	v_lshlrev_b64_e32 v[0:1], 4, v[0:1]
	v_add_co_u32 v0, vcc_lo, s2, v0
	s_wait_alu 0xfffd
	s_delay_alu instid0(VALU_DEP_2) | instskip(SKIP_4) | instid1(VALU_DEP_3)
	v_add_co_ci_u32_e32 v1, vcc_lo, s3, v1, vcc_lo
	s_mul_u64 s[2:3], s[4:5], 0x9a0
	v_mad_co_u64_u32 v[21:22], null, s5, v213, v[3:4]
	v_fma_f64 v[4:5], v[94:95], v[44:45], v[4:5]
	v_fma_f64 v[6:7], v[94:95], v[46:47], -v[6:7]
	v_mov_b32_e32 v3, v21
	s_delay_alu instid0(VALU_DEP_1)
	v_lshlrev_b64_e32 v[2:3], 4, v[2:3]
	s_wait_loadcnt 0x1
	v_mul_f64_e32 v[8:9], v[98:99], v[50:51]
	v_mul_f64_e32 v[10:11], v[98:99], v[48:49]
	scratch_load_b128 v[98:101], off, off offset:72 th:TH_LOAD_LU ; 16-byte Folded Reload
	s_wait_loadcnt_dscnt 0x100
	v_mul_f64_e32 v[90:91], v[118:119], v[86:87]
	v_mul_f64_e32 v[92:93], v[118:119], v[84:85]
	v_fma_f64 v[8:9], v[96:97], v[48:49], v[8:9]
	v_fma_f64 v[10:11], v[96:97], v[50:51], -v[10:11]
	v_add_co_u32 v48, vcc_lo, v0, v2
	v_fma_f64 v[44:45], v[116:117], v[84:85], v[90:91]
	v_fma_f64 v[46:47], v[116:117], v[86:87], -v[92:93]
	s_wait_alu 0xfffd
	v_add_co_ci_u32_e32 v49, vcc_lo, v1, v3, vcc_lo
	s_wait_alu 0xfffe
	v_mul_f64_e32 v[0:1], s[0:1], v[4:5]
	v_mul_f64_e32 v[2:3], s[0:1], v[6:7]
	v_add_co_u32 v50, vcc_lo, v48, s2
	s_wait_alu 0xfffd
	v_add_co_ci_u32_e32 v51, vcc_lo, s3, v49, vcc_lo
	v_mul_f64_e32 v[4:5], s[0:1], v[8:9]
	v_mul_f64_e32 v[6:7], s[0:1], v[10:11]
	s_wait_loadcnt 0x0
	v_mul_f64_e32 v[12:13], v[100:101], v[54:55]
	v_mul_f64_e32 v[14:15], v[100:101], v[52:53]
	scratch_load_b128 v[100:103], off, off offset:88 th:TH_LOAD_LU ; 16-byte Folded Reload
	v_fma_f64 v[12:13], v[98:99], v[52:53], v[12:13]
	v_fma_f64 v[14:15], v[98:99], v[54:55], -v[14:15]
	v_add_co_u32 v52, vcc_lo, v50, s2
	s_wait_alu 0xfffd
	v_add_co_ci_u32_e32 v53, vcc_lo, s3, v51, vcc_lo
	s_delay_alu instid0(VALU_DEP_2) | instskip(SKIP_1) | instid1(VALU_DEP_2)
	v_add_co_u32 v54, vcc_lo, v52, s2
	s_wait_alu 0xfffd
	v_add_co_ci_u32_e32 v55, vcc_lo, s3, v53, vcc_lo
	v_mul_f64_e32 v[8:9], s[0:1], v[12:13]
	v_mul_f64_e32 v[10:11], s[0:1], v[14:15]
	s_wait_loadcnt 0x0
	v_mul_f64_e32 v[16:17], v[102:103], v[58:59]
	v_mul_f64_e32 v[18:19], v[102:103], v[56:57]
	scratch_load_b128 v[102:105], off, off offset:104 th:TH_LOAD_LU ; 16-byte Folded Reload
	v_fma_f64 v[16:17], v[100:101], v[56:57], v[16:17]
	v_fma_f64 v[18:19], v[100:101], v[58:59], -v[18:19]
	s_delay_alu instid0(VALU_DEP_2) | instskip(NEXT) | instid1(VALU_DEP_2)
	v_mul_f64_e32 v[12:13], s[0:1], v[16:17]
	v_mul_f64_e32 v[14:15], s[0:1], v[18:19]
	s_wait_loadcnt 0x0
	v_mul_f64_e32 v[22:23], v[104:105], v[62:63]
	v_mul_f64_e32 v[24:25], v[104:105], v[60:61]
	scratch_load_b128 v[104:107], off, off offset:120 th:TH_LOAD_LU ; 16-byte Folded Reload
	v_fma_f64 v[20:21], v[102:103], v[60:61], v[22:23]
	v_fma_f64 v[22:23], v[102:103], v[62:63], -v[24:25]
	s_delay_alu instid0(VALU_DEP_2) | instskip(NEXT) | instid1(VALU_DEP_2)
	;; [unrolled: 9-line block ×4, first 2 shown]
	v_mul_f64_e32 v[24:25], s[0:1], v[28:29]
	v_mul_f64_e32 v[26:27], s[0:1], v[30:31]
	s_wait_loadcnt 0x0
	v_mul_f64_e32 v[34:35], v[110:111], v[74:75]
	v_mul_f64_e32 v[36:37], v[110:111], v[72:73]
	scratch_load_b128 v[110:113], off, off offset:168 th:TH_LOAD_LU ; 16-byte Folded Reload
	s_clause 0x3
	global_store_b128 v[48:49], v[0:3], off
	global_store_b128 v[50:51], v[4:7], off
	;; [unrolled: 1-line block ×4, first 2 shown]
	v_fma_f64 v[32:33], v[108:109], v[72:73], v[34:35]
	v_fma_f64 v[34:35], v[108:109], v[74:75], -v[36:37]
	v_fma_f64 v[36:37], v[114:115], v[76:77], v[38:39]
	v_fma_f64 v[38:39], v[114:115], v[78:79], -v[40:41]
	s_delay_alu instid0(VALU_DEP_4) | instskip(NEXT) | instid1(VALU_DEP_4)
	v_mul_f64_e32 v[28:29], s[0:1], v[32:33]
	v_mul_f64_e32 v[30:31], s[0:1], v[34:35]
	s_delay_alu instid0(VALU_DEP_4) | instskip(NEXT) | instid1(VALU_DEP_4)
	v_mul_f64_e32 v[32:33], s[0:1], v[36:37]
	v_mul_f64_e32 v[34:35], s[0:1], v[38:39]
	s_wait_loadcnt 0x0
	v_mul_f64_e32 v[42:43], v[112:113], v[82:83]
	v_mul_f64_e32 v[88:89], v[112:113], v[80:81]
	s_delay_alu instid0(VALU_DEP_2) | instskip(NEXT) | instid1(VALU_DEP_2)
	v_fma_f64 v[40:41], v[110:111], v[80:81], v[42:43]
	v_fma_f64 v[42:43], v[110:111], v[82:83], -v[88:89]
	s_delay_alu instid0(VALU_DEP_2) | instskip(NEXT) | instid1(VALU_DEP_2)
	v_mul_f64_e32 v[36:37], s[0:1], v[40:41]
	v_mul_f64_e32 v[38:39], s[0:1], v[42:43]
	;; [unrolled: 1-line block ×4, first 2 shown]
	v_add_co_u32 v44, vcc_lo, v54, s2
	s_wait_alu 0xfffd
	v_add_co_ci_u32_e32 v45, vcc_lo, s3, v55, vcc_lo
	s_delay_alu instid0(VALU_DEP_2) | instskip(SKIP_1) | instid1(VALU_DEP_2)
	v_add_co_u32 v46, vcc_lo, v44, s2
	s_wait_alu 0xfffd
	v_add_co_ci_u32_e32 v47, vcc_lo, s3, v45, vcc_lo
	global_store_b128 v[44:45], v[16:19], off
	v_add_co_u32 v56, vcc_lo, v46, s2
	s_wait_alu 0xfffd
	v_add_co_ci_u32_e32 v57, vcc_lo, s3, v47, vcc_lo
	global_store_b128 v[46:47], v[20:23], off
	v_add_co_u32 v0, vcc_lo, v56, s2
	s_wait_alu 0xfffd
	v_add_co_ci_u32_e32 v1, vcc_lo, s3, v57, vcc_lo
	s_delay_alu instid0(VALU_DEP_2) | instskip(SKIP_1) | instid1(VALU_DEP_2)
	v_add_co_u32 v2, vcc_lo, v0, s2
	s_wait_alu 0xfffd
	v_add_co_ci_u32_e32 v3, vcc_lo, s3, v1, vcc_lo
	s_delay_alu instid0(VALU_DEP_2) | instskip(SKIP_1) | instid1(VALU_DEP_2)
	v_add_co_u32 v4, vcc_lo, v2, s2
	s_wait_alu 0xfffd
	v_add_co_ci_u32_e32 v5, vcc_lo, s3, v3, vcc_lo
	s_delay_alu instid0(VALU_DEP_2) | instskip(SKIP_1) | instid1(VALU_DEP_2)
	v_add_co_u32 v6, vcc_lo, v4, s2
	s_wait_alu 0xfffd
	v_add_co_ci_u32_e32 v7, vcc_lo, s3, v5, vcc_lo
	global_store_b128 v[56:57], v[24:27], off
	global_store_b128 v[0:1], v[28:31], off
	;; [unrolled: 1-line block ×5, first 2 shown]
.LBB0_18:
	s_nop 0
	s_sendmsg sendmsg(MSG_DEALLOC_VGPRS)
	s_endpgm
	.section	.rodata,"a",@progbits
	.p2align	6, 0x0
	.amdhsa_kernel bluestein_single_fwd_len1694_dim1_dp_op_CI_CI
		.amdhsa_group_segment_fixed_size 27104
		.amdhsa_private_segment_fixed_size 292
		.amdhsa_kernarg_size 104
		.amdhsa_user_sgpr_count 2
		.amdhsa_user_sgpr_dispatch_ptr 0
		.amdhsa_user_sgpr_queue_ptr 0
		.amdhsa_user_sgpr_kernarg_segment_ptr 1
		.amdhsa_user_sgpr_dispatch_id 0
		.amdhsa_user_sgpr_private_segment_size 0
		.amdhsa_wavefront_size32 1
		.amdhsa_uses_dynamic_stack 0
		.amdhsa_enable_private_segment 1
		.amdhsa_system_sgpr_workgroup_id_x 1
		.amdhsa_system_sgpr_workgroup_id_y 0
		.amdhsa_system_sgpr_workgroup_id_z 0
		.amdhsa_system_sgpr_workgroup_info 0
		.amdhsa_system_vgpr_workitem_id 0
		.amdhsa_next_free_vgpr 256
		.amdhsa_next_free_sgpr 40
		.amdhsa_reserve_vcc 1
		.amdhsa_float_round_mode_32 0
		.amdhsa_float_round_mode_16_64 0
		.amdhsa_float_denorm_mode_32 3
		.amdhsa_float_denorm_mode_16_64 3
		.amdhsa_fp16_overflow 0
		.amdhsa_workgroup_processor_mode 1
		.amdhsa_memory_ordered 1
		.amdhsa_forward_progress 0
		.amdhsa_round_robin_scheduling 0
		.amdhsa_exception_fp_ieee_invalid_op 0
		.amdhsa_exception_fp_denorm_src 0
		.amdhsa_exception_fp_ieee_div_zero 0
		.amdhsa_exception_fp_ieee_overflow 0
		.amdhsa_exception_fp_ieee_underflow 0
		.amdhsa_exception_fp_ieee_inexact 0
		.amdhsa_exception_int_div_zero 0
	.end_amdhsa_kernel
	.text
.Lfunc_end0:
	.size	bluestein_single_fwd_len1694_dim1_dp_op_CI_CI, .Lfunc_end0-bluestein_single_fwd_len1694_dim1_dp_op_CI_CI
                                        ; -- End function
	.section	.AMDGPU.csdata,"",@progbits
; Kernel info:
; codeLenInByte = 18880
; NumSgprs: 42
; NumVgprs: 256
; ScratchSize: 292
; MemoryBound: 0
; FloatMode: 240
; IeeeMode: 1
; LDSByteSize: 27104 bytes/workgroup (compile time only)
; SGPRBlocks: 5
; VGPRBlocks: 31
; NumSGPRsForWavesPerEU: 42
; NumVGPRsForWavesPerEU: 256
; Occupancy: 5
; WaveLimiterHint : 1
; COMPUTE_PGM_RSRC2:SCRATCH_EN: 1
; COMPUTE_PGM_RSRC2:USER_SGPR: 2
; COMPUTE_PGM_RSRC2:TRAP_HANDLER: 0
; COMPUTE_PGM_RSRC2:TGID_X_EN: 1
; COMPUTE_PGM_RSRC2:TGID_Y_EN: 0
; COMPUTE_PGM_RSRC2:TGID_Z_EN: 0
; COMPUTE_PGM_RSRC2:TIDIG_COMP_CNT: 0
	.text
	.p2alignl 7, 3214868480
	.fill 96, 4, 3214868480
	.type	__hip_cuid_af22e263104dc105,@object ; @__hip_cuid_af22e263104dc105
	.section	.bss,"aw",@nobits
	.globl	__hip_cuid_af22e263104dc105
__hip_cuid_af22e263104dc105:
	.byte	0                               ; 0x0
	.size	__hip_cuid_af22e263104dc105, 1

	.ident	"AMD clang version 19.0.0git (https://github.com/RadeonOpenCompute/llvm-project roc-6.4.0 25133 c7fe45cf4b819c5991fe208aaa96edf142730f1d)"
	.section	".note.GNU-stack","",@progbits
	.addrsig
	.addrsig_sym __hip_cuid_af22e263104dc105
	.amdgpu_metadata
---
amdhsa.kernels:
  - .args:
      - .actual_access:  read_only
        .address_space:  global
        .offset:         0
        .size:           8
        .value_kind:     global_buffer
      - .actual_access:  read_only
        .address_space:  global
        .offset:         8
        .size:           8
        .value_kind:     global_buffer
      - .actual_access:  read_only
        .address_space:  global
        .offset:         16
        .size:           8
        .value_kind:     global_buffer
      - .actual_access:  read_only
        .address_space:  global
        .offset:         24
        .size:           8
        .value_kind:     global_buffer
      - .actual_access:  read_only
        .address_space:  global
        .offset:         32
        .size:           8
        .value_kind:     global_buffer
      - .offset:         40
        .size:           8
        .value_kind:     by_value
      - .address_space:  global
        .offset:         48
        .size:           8
        .value_kind:     global_buffer
      - .address_space:  global
        .offset:         56
        .size:           8
        .value_kind:     global_buffer
      - .address_space:  global
        .offset:         64
        .size:           8
        .value_kind:     global_buffer
      - .address_space:  global
        .offset:         72
        .size:           8
        .value_kind:     global_buffer
      - .offset:         80
        .size:           4
        .value_kind:     by_value
      - .address_space:  global
        .offset:         88
        .size:           8
        .value_kind:     global_buffer
      - .address_space:  global
        .offset:         96
        .size:           8
        .value_kind:     global_buffer
    .group_segment_fixed_size: 27104
    .kernarg_segment_align: 8
    .kernarg_segment_size: 104
    .language:       OpenCL C
    .language_version:
      - 2
      - 0
    .max_flat_workgroup_size: 154
    .name:           bluestein_single_fwd_len1694_dim1_dp_op_CI_CI
    .private_segment_fixed_size: 292
    .sgpr_count:     42
    .sgpr_spill_count: 0
    .symbol:         bluestein_single_fwd_len1694_dim1_dp_op_CI_CI.kd
    .uniform_work_group_size: 1
    .uses_dynamic_stack: false
    .vgpr_count:     256
    .vgpr_spill_count: 80
    .wavefront_size: 32
    .workgroup_processor_mode: 1
amdhsa.target:   amdgcn-amd-amdhsa--gfx1201
amdhsa.version:
  - 1
  - 2
...

	.end_amdgpu_metadata
